;; amdgpu-corpus repo=ROCm/aiter kind=harvested arch=n/a opt=n/a

/root/src/amdgpu-assembly/repos/ROCm__aiter/hsa/gfx950/pa/pa_bf16_perblockFp8_blk1024_1tg_4w_qlen64_msk1_ps.co:	file format elf64-amdgpu

Disassembly of section .text:

0000000000002600 <_ZN5aiter45PA_A16W8_BLK1024_1TG_4W_64mx1_64nx4_MTP_PS_PBE>:
	s_and_b32 s1, s1, 0xffff                                   // 000000002600: 8601FF01 0000FFFF
	s_load_dwordx2 s[4:5], s[0:1], 0x0                         // 000000002608: C0060100 00000000
	s_load_dwordx2 s[8:9], s[0:1], 0x10                        // 000000002610: C0060200 00000010
	s_load_dwordx2 s[12:13], s[0:1], 0x20                      // 000000002618: C0060300 00000020
	s_load_dwordx2 s[16:17], s[0:1], 0x30                      // 000000002620: C0060400 00000030
	s_load_dwordx2 s[42:43], s[0:1], 0x40                      // 000000002628: C0060A80 00000040
	s_load_dwordx2 s[40:41], s[0:1], 0x50                      // 000000002630: C0060A00 00000050
	s_load_dwordx2 s[20:21], s[0:1], 0x60                      // 000000002638: C0060500 00000060
	s_load_dwordx2 s[24:25], s[0:1], 0x70                      // 000000002640: C0060600 00000070
	s_load_dword s46, s[0:1], 0x80                             // 000000002648: C0020B80 00000080
	s_load_dword s48, s[0:1], 0x90                             // 000000002650: C0020C00 00000090
	s_load_dword s49, s[0:1], 0xa0                             // 000000002658: C0020C40 000000A0
	s_load_dword s50, s[0:1], 0xb0                             // 000000002660: C0020C80 000000B0
	s_load_dword s51, s[0:1], 0xc0                             // 000000002668: C0020CC0 000000C0
	s_load_dword s52, s[0:1], 0xd0                             // 000000002670: C0020D00 000000D0
	s_load_dword s53, s[0:1], 0xe0                             // 000000002678: C0020D40 000000E0
	s_load_dwordx2 s[44:45], s[0:1], 0x100                     // 000000002680: C0060B00 00000100
	s_load_dwordx2 s[36:37], s[0:1], 0x110                     // 000000002688: C0060900 00000110
	s_load_dwordx2 s[38:39], s[0:1], 0x120                     // 000000002690: C0060980 00000120
	s_load_dwordx2 s[28:29], s[0:1], 0x130                     // 000000002698: C0060700 00000130
	s_load_dwordx2 s[32:33], s[0:1], 0x140                     // 0000000026A0: C0060800 00000140
	v_lshrrev_b32_e32 v1, 10, v0                               // 0000000026A8: 2002008A
	v_lshrrev_b32_e32 v2, 10, v1                               // 0000000026AC: 2004028A
	v_and_b32_e32 v2, 0x3ff, v2                                // 0000000026B0: 260404FF 000003FF
	v_and_b32_e32 v1, 0x3ff, v1                                // 0000000026B8: 260202FF 000003FF
	v_and_b32_e32 v0, 0x3ff, v0                                // 0000000026C0: 260000FF 000003FF
	v_lshrrev_b32_e32 v3, 6, v0                                // 0000000026C8: 20060086
	v_and_b32_e32 v0, 63, v0                                   // 0000000026CC: 260000BF
	s_mov_b32 s58, s2                                          // 0000000026D0: BEBA0002
	v_readfirstlane_b32 s57, v3                                // 0000000026D4: 7E720503
	s_mov_b32 s56, 0x7060302                                   // 0000000026D8: BEB800FF 07060302
	v_mov_b32_e32 v208, 0xffff0000                             // 0000000026E0: 7FA002FF FFFF0000
	v_mov_b32_e32 v209, 0x7fff0000                             // 0000000026E8: 7FA202FF 7FFF0000
	v_mov_b32_e32 v210, 0x7fff                                 // 0000000026F0: 7FA402FF 00007FFF
	v_mov_b32_e32 v216, 0xff800000                             // 0000000026F8: 7FB002FF FF800000
	v_lshrrev_b32_e32 v196, 4, v0                              // 000000002700: 21880084
	v_and_b32_e32 v197, 15, v0                                 // 000000002704: 278A008F
	v_add_u32_e32 v198, 1, v196                                // 000000002708: 698D8881
	v_and_b32_e32 v200, 3, v198                                // 00000000270C: 27918C83
	v_lshlrev_b32_e32 v200, 4, v200                            // 000000002710: 25919084
	v_add_u32_e32 v200, v197, v200                             // 000000002714: 699191C5
	v_lshlrev_b32_e32 v200, 2, v200                            // 000000002718: 25919082
	v_add_u32_e32 v198, 2, v196                                // 00000000271C: 698D8882
	v_and_b32_e32 v201, 3, v198                                // 000000002720: 27938C83
	v_lshlrev_b32_e32 v201, 4, v201                            // 000000002724: 25939284
	v_add_u32_e32 v201, v197, v201                             // 000000002728: 699393C5
	v_lshlrev_b32_e32 v201, 2, v201                            // 00000000272C: 25939282
	v_add_u32_e32 v198, 3, v196                                // 000000002730: 698D8883
	v_and_b32_e32 v202, 3, v198                                // 000000002734: 27958C83
	v_lshlrev_b32_e32 v202, 4, v202                            // 000000002738: 25959484
	v_add_u32_e32 v202, v197, v202                             // 00000000273C: 699595C5
	v_lshlrev_b32_e32 v202, 2, v202                            // 000000002740: 25959482
	s_waitcnt lgkmcnt(0)                                       // 000000002744: BF8CC07F
	s_lshl_b32 s54, s58, 2                                     // 000000002748: 8E36823A
	s_and_b32 s37, s37, 0xffff                                 // 00000000274C: 8625FF25 0000FFFF
	s_load_dwordx2 s[80:81], s[36:37], s54                     // 000000002754: C0041412 00000036
	s_mul_i32 s54, s53, 0x100                                  // 00000000275C: 9236FF35 00000100
	s_mul_i32 s67, s48, s54                                    // 000000002764: 92433630
	s_mul_i32 s66, s48, 4                                      // 000000002768: 92428430
	s_mov_b32 s47, s46                                         // 00000000276C: BEAF002E
	s_mov_b32 s10, 0x80000000                                  // 000000002770: BE8A00FF 80000000
	s_mov_b32 s11, 0x20000                                     // 000000002778: BE8B00FF 00020000
	s_and_b32 s9, s9, 0xffff                                   // 000000002780: 8609FF09 0000FFFF
	s_or_b32 s9, s9, 0                                         // 000000002788: 87098009
	s_mov_b32 s84, s8                                          // 00000000278C: BED40008
	s_mov_b32 s85, s9                                          // 000000002790: BED50009
	s_mov_b32 s6, 0x80000000                                   // 000000002794: BE8600FF 80000000
	s_mov_b32 s7, 0x20000                                      // 00000000279C: BE8700FF 00020000
	s_and_b32 s5, s5, 0xffff                                   // 0000000027A4: 8605FF05 0000FFFF
	s_or_b32 s5, s5, 0                                         // 0000000027AC: 87058005
	s_mov_b32 s82, s4                                          // 0000000027B0: BED20004
	s_mov_b32 s83, s5                                          // 0000000027B4: BED30005
	s_mov_b32 s30, 0x80000000                                  // 0000000027B8: BE9E00FF 80000000
	s_mov_b32 s31, 0x20000                                     // 0000000027C0: BE9F00FF 00020000
	s_and_b32 s29, s29, 0xffff                                 // 0000000027C8: 861DFF1D 0000FFFF
	s_or_b32 s29, s29, 0                                       // 0000000027D0: 871D801D
	s_mov_b32 s94, s28                                         // 0000000027D4: BEDE001C
	s_mov_b32 s95, s29                                         // 0000000027D8: BEDF001D
	s_mov_b32 s34, 0x80000000                                  // 0000000027DC: BEA200FF 80000000
	s_mov_b32 s35, 0x20000                                     // 0000000027E4: BEA300FF 00020000
	s_and_b32 s33, s33, 0xffff                                 // 0000000027EC: 8621FF21 0000FFFF
	s_or_b32 s33, s33, 0                                       // 0000000027F4: 87218021
	s_mov_b32 s96, s32                                         // 0000000027F8: BEE00020
	s_mov_b32 s97, s33                                         // 0000000027FC: BEE10021
	s_mov_b32 s14, 0x80000000                                  // 000000002800: BE8E00FF 80000000
	s_mov_b32 s15, 0x20000                                     // 000000002808: BE8F00FF 00020000
	s_and_b32 s13, s13, 0xffff                                 // 000000002810: 860DFF0D 0000FFFF
	s_or_b32 s13, s13, 0                                       // 000000002818: 870D800D
	s_mul_i32 s55, s57, 0x100                                  // 00000000281C: 9237FF39 00000100
	s_add_u32 s86, s12, s55                                    // 000000002824: 8056370C
	s_addc_u32 s87, s13, 0                                     // 000000002828: 8257800D
	s_mov_b32 s18, 0x80000000                                  // 00000000282C: BE9200FF 80000000
	s_mov_b32 s19, 0x20000                                     // 000000002834: BE9300FF 00020000
	s_and_b32 s17, s17, 0xffff                                 // 00000000283C: 8611FF11 0000FFFF
	s_or_b32 s17, s17, 0                                       // 000000002844: 87118011
	s_add_u32 s88, s16, s55                                    // 000000002848: 80583710
	s_addc_u32 s89, s17, 0                                     // 00000000284C: 82598011
	s_mov_b32 s22, 0x80000000                                  // 000000002850: BE9600FF 80000000
	s_mov_b32 s23, 0x20000                                     // 000000002858: BE9700FF 00020000
	s_and_b32 s21, s21, 0xffff                                 // 000000002860: 8615FF15 0000FFFF
	s_or_b32 s21, s21, 0                                       // 000000002868: 87158015
	s_add_u32 s90, s20, 0                                      // 00000000286C: 805A8014
	s_addc_u32 s91, s21, 0                                     // 000000002870: 825B8015
	s_mov_b32 s26, 0x80000000                                  // 000000002874: BE9A00FF 80000000
	s_mov_b32 s27, 0x20000                                     // 00000000287C: BE9B00FF 00020000
	s_and_b32 s25, s25, 0xffff                                 // 000000002884: 8619FF19 0000FFFF
	s_or_b32 s25, s25, 0                                       // 00000000288C: 87198019
	s_add_u32 s92, s24, 0                                      // 000000002890: 805C8018
	s_addc_u32 s93, s25, 0                                     // 000000002894: 825D8019
	s_and_b32 s39, s39, 0xffff                                 // 000000002898: 8627FF27 0000FFFF
	s_and_b32 s41, s41, 0xffff                                 // 0000000028A0: 8629FF29 0000FFFF
	s_and_b32 s43, s43, 0xffff                                 // 0000000028A8: 862BFF2B 0000FFFF
	s_and_b32 s45, s45, 0xffff                                 // 0000000028B0: 862DFF2D 0000FFFF
	v_and_b32_e32 v188, 15, v0                                 // 0000000028B8: 2778008F
	v_lshlrev_b32_e32 v188, 4, v188                            // 0000000028BC: 25797884
	s_lshl_b32 s54, s57, 2                                     // 0000000028C0: 8E368239
	v_lshrrev_b32_e32 v180, 4, v0                              // 0000000028C4: 21680084
	v_add_u32_e32 v180, s54, v180                              // 0000000028C8: 69696836
	v_add_u32_e32 v181, 16, v180                               // 0000000028CC: 696B6890
	v_add_u32_e32 v182, 16, v181                               // 0000000028D0: 696D6A90
	v_add_u32_e32 v183, 16, v182                               // 0000000028D4: 696F6C90
	v_cvt_f32_u32_e32 v196, s53                                // 0000000028D8: 7F880C35
	v_sub_i32 v184, 0, s53                                     // 0000000028DC: D29D00B8 00006A80
	v_rcp_iflag_f32_e32 v196, v196                             // 0000000028E4: 7F8847C4
	s_nop 0                                                    // 0000000028E8: BF800000
	v_mul_f32_e32 v196, 0x4f7ffffe, v196                       // 0000000028EC: 0B8988FF 4F7FFFFE
	v_cvt_u32_f32_e32 v196, v196                               // 0000000028F4: 7F880FC4
	v_mul_lo_u32 v197, v184, v196                              // 0000000028F8: D28500C5 000389B8
	v_mul_hi_u32 v197, v196, v197                              // 000000002900: D28600C5 00038BC4
	v_add_u32_e32 v196, v196, v197                             // 000000002908: 69898BC4
	v_mul_hi_u32 v196, v180, v196                              // 00000000290C: D28600C4 000389B4
	v_mul_lo_u32 v197, v196, s53                               // 000000002914: D28500C5 00006BC4
	v_sub_u32_e32 v199, v180, v197                             // 00000000291C: 6B8F8BB4
	v_add_u32_e32 v198, 1, v196                                // 000000002920: 698D8881
	v_cmp_le_u32_e32 vcc, s53, v199                            // 000000002924: 7D978E35
	v_subrev_u32_e32 v197, s53, v199                           // 000000002928: 6D8B8E35
	s_nop 0                                                    // 00000000292C: BF800000
	v_cndmask_b32_e32 v196, v196, v198, vcc                    // 000000002930: 01898DC4
	v_cndmask_b32_e32 v199, v199, v197, vcc                    // 000000002934: 018F8BC7
	v_add_u32_e32 v197, 1, v196                                // 000000002938: 698B8881
	v_cmp_le_u32_e32 vcc, s53, v199                            // 00000000293C: 7D978E35
	s_nop 1                                                    // 000000002940: BF800001
	v_cndmask_b32_e32 v184, v196, v197, vcc                    // 000000002944: 01718BC4
	v_mul_i32_i24_e32 v198, s53, v184                          // 000000002948: 0D8D7035
	v_sub_u32_e32 v198, v180, v198                             // 00000000294C: 6B8D8DB4
	v_mul_u32_u24_e32 v198, 0x100, v198                        // 000000002950: 118D8CFF 00000100
	v_mul_u32_u24_e32 v217, s49, v184                          // 000000002958: 11B37031
	v_add3_u32 v217, v198, v217, v188                          // 00000000295C: D1FF00D9 06F3B3C6
	v_mul_u32_u24_e32 v221, s67, v184                          // 000000002964: 11BB7043
	v_add3_u32 v221, v198, v221, v188                          // 000000002968: D1FF00DD 06F3BBC6
	v_cvt_f32_u32_e32 v196, s53                                // 000000002970: 7F880C35
	v_sub_i32 v184, 0, s53                                     // 000000002974: D29D00B8 00006A80
	v_rcp_iflag_f32_e32 v196, v196                             // 00000000297C: 7F8847C4
	s_nop 0                                                    // 000000002980: BF800000
	v_mul_f32_e32 v196, 0x4f7ffffe, v196                       // 000000002984: 0B8988FF 4F7FFFFE
	v_cvt_u32_f32_e32 v196, v196                               // 00000000298C: 7F880FC4
	v_mul_lo_u32 v197, v184, v196                              // 000000002990: D28500C5 000389B8
	v_mul_hi_u32 v197, v196, v197                              // 000000002998: D28600C5 00038BC4
	v_add_u32_e32 v196, v196, v197                             // 0000000029A0: 69898BC4
	v_mul_hi_u32 v196, v181, v196                              // 0000000029A4: D28600C4 000389B5
	v_mul_lo_u32 v197, v196, s53                               // 0000000029AC: D28500C5 00006BC4
	v_sub_u32_e32 v199, v181, v197                             // 0000000029B4: 6B8F8BB5
	v_add_u32_e32 v198, 1, v196                                // 0000000029B8: 698D8881
	v_cmp_le_u32_e32 vcc, s53, v199                            // 0000000029BC: 7D978E35
	v_subrev_u32_e32 v197, s53, v199                           // 0000000029C0: 6D8B8E35
	s_nop 0                                                    // 0000000029C4: BF800000
	v_cndmask_b32_e32 v196, v196, v198, vcc                    // 0000000029C8: 01898DC4
	v_cndmask_b32_e32 v199, v199, v197, vcc                    // 0000000029CC: 018F8BC7
	v_add_u32_e32 v197, 1, v196                                // 0000000029D0: 698B8881
	v_cmp_le_u32_e32 vcc, s53, v199                            // 0000000029D4: 7D978E35
	s_nop 1                                                    // 0000000029D8: BF800001
	v_cndmask_b32_e32 v184, v196, v197, vcc                    // 0000000029DC: 01718BC4
	v_mul_i32_i24_e32 v198, s53, v184                          // 0000000029E0: 0D8D7035
	v_sub_u32_e32 v198, v181, v198                             // 0000000029E4: 6B8D8DB5
	v_mul_u32_u24_e32 v198, 0x100, v198                        // 0000000029E8: 118D8CFF 00000100
	v_mul_u32_u24_e32 v218, s49, v184                          // 0000000029F0: 11B57031
	v_add3_u32 v218, v198, v218, v188                          // 0000000029F4: D1FF00DA 06F3B5C6
	v_mul_u32_u24_e32 v222, s67, v184                          // 0000000029FC: 11BD7043
	v_add3_u32 v222, v198, v222, v188                          // 000000002A00: D1FF00DE 06F3BDC6
	v_cvt_f32_u32_e32 v196, s53                                // 000000002A08: 7F880C35
	v_sub_i32 v184, 0, s53                                     // 000000002A0C: D29D00B8 00006A80
	v_rcp_iflag_f32_e32 v196, v196                             // 000000002A14: 7F8847C4
	s_nop 0                                                    // 000000002A18: BF800000
	v_mul_f32_e32 v196, 0x4f7ffffe, v196                       // 000000002A1C: 0B8988FF 4F7FFFFE
	v_cvt_u32_f32_e32 v196, v196                               // 000000002A24: 7F880FC4
	v_mul_lo_u32 v197, v184, v196                              // 000000002A28: D28500C5 000389B8
	v_mul_hi_u32 v197, v196, v197                              // 000000002A30: D28600C5 00038BC4
	v_add_u32_e32 v196, v196, v197                             // 000000002A38: 69898BC4
	v_mul_hi_u32 v196, v182, v196                              // 000000002A3C: D28600C4 000389B6
	v_mul_lo_u32 v197, v196, s53                               // 000000002A44: D28500C5 00006BC4
	v_sub_u32_e32 v199, v182, v197                             // 000000002A4C: 6B8F8BB6
	v_add_u32_e32 v198, 1, v196                                // 000000002A50: 698D8881
	v_cmp_le_u32_e32 vcc, s53, v199                            // 000000002A54: 7D978E35
	v_subrev_u32_e32 v197, s53, v199                           // 000000002A58: 6D8B8E35
	s_nop 0                                                    // 000000002A5C: BF800000
	v_cndmask_b32_e32 v196, v196, v198, vcc                    // 000000002A60: 01898DC4
	v_cndmask_b32_e32 v199, v199, v197, vcc                    // 000000002A64: 018F8BC7
	v_add_u32_e32 v197, 1, v196                                // 000000002A68: 698B8881
	v_cmp_le_u32_e32 vcc, s53, v199                            // 000000002A6C: 7D978E35
	s_nop 1                                                    // 000000002A70: BF800001
	v_cndmask_b32_e32 v184, v196, v197, vcc                    // 000000002A74: 01718BC4
	v_mul_i32_i24_e32 v198, s53, v184                          // 000000002A78: 0D8D7035
	v_sub_u32_e32 v198, v182, v198                             // 000000002A7C: 6B8D8DB6
	v_mul_u32_u24_e32 v198, 0x100, v198                        // 000000002A80: 118D8CFF 00000100
	v_mul_u32_u24_e32 v219, s49, v184                          // 000000002A88: 11B77031
	v_add3_u32 v219, v198, v219, v188                          // 000000002A8C: D1FF00DB 06F3B7C6
	v_mul_u32_u24_e32 v223, s67, v184                          // 000000002A94: 11BF7043
	v_add3_u32 v223, v198, v223, v188                          // 000000002A98: D1FF00DF 06F3BFC6
	v_cvt_f32_u32_e32 v196, s53                                // 000000002AA0: 7F880C35
	v_sub_i32 v184, 0, s53                                     // 000000002AA4: D29D00B8 00006A80
	v_rcp_iflag_f32_e32 v196, v196                             // 000000002AAC: 7F8847C4
	s_nop 0                                                    // 000000002AB0: BF800000
	v_mul_f32_e32 v196, 0x4f7ffffe, v196                       // 000000002AB4: 0B8988FF 4F7FFFFE
	v_cvt_u32_f32_e32 v196, v196                               // 000000002ABC: 7F880FC4
	v_mul_lo_u32 v197, v184, v196                              // 000000002AC0: D28500C5 000389B8
	v_mul_hi_u32 v197, v196, v197                              // 000000002AC8: D28600C5 00038BC4
	v_add_u32_e32 v196, v196, v197                             // 000000002AD0: 69898BC4
	v_mul_hi_u32 v196, v183, v196                              // 000000002AD4: D28600C4 000389B7
	v_mul_lo_u32 v197, v196, s53                               // 000000002ADC: D28500C5 00006BC4
	v_sub_u32_e32 v199, v183, v197                             // 000000002AE4: 6B8F8BB7
	v_add_u32_e32 v198, 1, v196                                // 000000002AE8: 698D8881
	v_cmp_le_u32_e32 vcc, s53, v199                            // 000000002AEC: 7D978E35
	v_subrev_u32_e32 v197, s53, v199                           // 000000002AF0: 6D8B8E35
	s_nop 0                                                    // 000000002AF4: BF800000
	v_cndmask_b32_e32 v196, v196, v198, vcc                    // 000000002AF8: 01898DC4
	v_cndmask_b32_e32 v199, v199, v197, vcc                    // 000000002AFC: 018F8BC7
	v_add_u32_e32 v197, 1, v196                                // 000000002B00: 698B8881
	v_cmp_le_u32_e32 vcc, s53, v199                            // 000000002B04: 7D978E35
	s_nop 1                                                    // 000000002B08: BF800001
	v_cndmask_b32_e32 v184, v196, v197, vcc                    // 000000002B0C: 01718BC4
	v_mul_i32_i24_e32 v198, s53, v184                          // 000000002B10: 0D8D7035
	v_sub_u32_e32 v198, v183, v198                             // 000000002B14: 6B8D8DB7
	v_mul_u32_u24_e32 v198, 0x100, v198                        // 000000002B18: 118D8CFF 00000100
	v_mul_u32_u24_e32 v220, s49, v184                          // 000000002B20: 11B97031
	v_add3_u32 v220, v198, v220, v188                          // 000000002B24: D1FF00DC 06F3B9C6
	v_mul_u32_u24_e32 v224, s67, v184                          // 000000002B2C: 11C17043
	v_add3_u32 v224, v198, v224, v188                          // 000000002B30: D1FF00E0 06F3C1C6
	s_lshl_b32 s54, s57, 6                                     // 000000002B38: 8E368639
	v_lshrrev_b32_e32 v188, 4, v0                              // 000000002B3C: 21780084
	v_lshlrev_b32_e32 v188, 4, v188                            // 000000002B40: 25797884
	v_add_u32_e32 v188, s54, v188                              // 000000002B44: 69797836
	v_and_b32_e32 v180, 15, v0                                 // 000000002B48: 2768008F
	v_add_u32_e64 v181, v180, 16                               // 000000002B4C: D13400B5 000121B4
	v_add_u32_e64 v182, v180, 32                               // 000000002B54: D13400B6 000141B4
	v_add_u32_e64 v183, v180, 48                               // 000000002B5C: D13400B7 000161B4
	s_mul_i32 s54, s48, s53                                    // 000000002B64: 92363530
	s_lshl_b32 s54, s54, 2                                     // 000000002B68: 8E368236
	s_mul_i32 s55, s54, 0x80                                   // 000000002B6C: 9237FF36 00000080
	v_cvt_f32_u32_e32 v196, s53                                // 000000002B74: 7F880C35
	v_sub_i32 v184, 0, s53                                     // 000000002B78: D29D00B8 00006A80
	v_rcp_iflag_f32_e32 v196, v196                             // 000000002B80: 7F8847C4
	s_nop 0                                                    // 000000002B84: BF800000
	v_mul_f32_e32 v196, 0x4f7ffffe, v196                       // 000000002B88: 0B8988FF 4F7FFFFE
	v_cvt_u32_f32_e32 v196, v196                               // 000000002B90: 7F880FC4
	v_mul_lo_u32 v197, v184, v196                              // 000000002B94: D28500C5 000389B8
	v_mul_hi_u32 v197, v196, v197                              // 000000002B9C: D28600C5 00038BC4
	v_add_u32_e32 v196, v196, v197                             // 000000002BA4: 69898BC4
	v_mul_hi_u32 v196, v180, v196                              // 000000002BA8: D28600C4 000389B4
	v_mul_lo_u32 v197, v196, s53                               // 000000002BB0: D28500C5 00006BC4
	v_sub_u32_e32 v199, v180, v197                             // 000000002BB8: 6B8F8BB4
	v_add_u32_e32 v198, 1, v196                                // 000000002BBC: 698D8881
	v_cmp_le_u32_e32 vcc, s53, v199                            // 000000002BC0: 7D978E35
	v_subrev_u32_e32 v197, s53, v199                           // 000000002BC4: 6D8B8E35
	s_nop 0                                                    // 000000002BC8: BF800000
	v_cndmask_b32_e32 v196, v196, v198, vcc                    // 000000002BCC: 01898DC4
	v_cndmask_b32_e32 v199, v199, v197, vcc                    // 000000002BD0: 018F8BC7
	v_add_u32_e32 v197, 1, v196                                // 000000002BD4: 698B8881
	v_cmp_le_u32_e32 vcc, s53, v199                            // 000000002BD8: 7D978E35
	s_nop 1                                                    // 000000002BDC: BF800001
	v_cndmask_b32_e32 v184, v196, v197, vcc                    // 000000002BE0: 01718BC4
	v_mul_i32_i24_e32 v198, s53, v184                          // 000000002BE4: 0D8D7035
	v_sub_u32_e32 v198, v180, v198                             // 000000002BE8: 6B8D8DB4
	v_lshlrev_b32_e32 v199, 2, v198                            // 000000002BEC: 258F8C82
	v_mul_u32_u24_e32 v233, s54, v184                          // 000000002BF0: 11D37036
	v_add_u32_e32 v233, v199, v233                             // 000000002BF4: 69D3D3C7
	v_mul_u32_u24_e32 v199, 0x200, v198                        // 000000002BF8: 118F8CFF 00000200
	v_mul_u32_u24_e32 v237, s55, v184                          // 000000002C00: 11DB7037
	v_add3_u32 v237, v199, v237, v188                          // 000000002C04: D1FF00ED 06F3DBC7
	v_cvt_f32_u32_e32 v196, s53                                // 000000002C0C: 7F880C35
	v_sub_i32 v184, 0, s53                                     // 000000002C10: D29D00B8 00006A80
	v_rcp_iflag_f32_e32 v196, v196                             // 000000002C18: 7F8847C4
	s_nop 0                                                    // 000000002C1C: BF800000
	v_mul_f32_e32 v196, 0x4f7ffffe, v196                       // 000000002C20: 0B8988FF 4F7FFFFE
	v_cvt_u32_f32_e32 v196, v196                               // 000000002C28: 7F880FC4
	v_mul_lo_u32 v197, v184, v196                              // 000000002C2C: D28500C5 000389B8
	v_mul_hi_u32 v197, v196, v197                              // 000000002C34: D28600C5 00038BC4
	v_add_u32_e32 v196, v196, v197                             // 000000002C3C: 69898BC4
	v_mul_hi_u32 v196, v181, v196                              // 000000002C40: D28600C4 000389B5
	v_mul_lo_u32 v197, v196, s53                               // 000000002C48: D28500C5 00006BC4
	v_sub_u32_e32 v199, v181, v197                             // 000000002C50: 6B8F8BB5
	v_add_u32_e32 v198, 1, v196                                // 000000002C54: 698D8881
	v_cmp_le_u32_e32 vcc, s53, v199                            // 000000002C58: 7D978E35
	v_subrev_u32_e32 v197, s53, v199                           // 000000002C5C: 6D8B8E35
	s_nop 0                                                    // 000000002C60: BF800000
	v_cndmask_b32_e32 v196, v196, v198, vcc                    // 000000002C64: 01898DC4
	v_cndmask_b32_e32 v199, v199, v197, vcc                    // 000000002C68: 018F8BC7
	v_add_u32_e32 v197, 1, v196                                // 000000002C6C: 698B8881
	v_cmp_le_u32_e32 vcc, s53, v199                            // 000000002C70: 7D978E35
	s_nop 1                                                    // 000000002C74: BF800001
	v_cndmask_b32_e32 v184, v196, v197, vcc                    // 000000002C78: 01718BC4
	v_mul_i32_i24_e32 v198, s53, v184                          // 000000002C7C: 0D8D7035
	v_sub_u32_e32 v198, v181, v198                             // 000000002C80: 6B8D8DB5
	v_lshlrev_b32_e32 v199, 2, v198                            // 000000002C84: 258F8C82
	v_mul_u32_u24_e32 v234, s54, v184                          // 000000002C88: 11D57036
	v_add_u32_e32 v234, v199, v234                             // 000000002C8C: 69D5D5C7
	v_mul_u32_u24_e32 v199, 0x200, v198                        // 000000002C90: 118F8CFF 00000200
	v_mul_u32_u24_e32 v238, s55, v184                          // 000000002C98: 11DD7037
	v_add3_u32 v238, v199, v238, v188                          // 000000002C9C: D1FF00EE 06F3DDC7
	v_cvt_f32_u32_e32 v196, s53                                // 000000002CA4: 7F880C35
	v_sub_i32 v184, 0, s53                                     // 000000002CA8: D29D00B8 00006A80
	v_rcp_iflag_f32_e32 v196, v196                             // 000000002CB0: 7F8847C4
	s_nop 0                                                    // 000000002CB4: BF800000
	v_mul_f32_e32 v196, 0x4f7ffffe, v196                       // 000000002CB8: 0B8988FF 4F7FFFFE
	v_cvt_u32_f32_e32 v196, v196                               // 000000002CC0: 7F880FC4
	v_mul_lo_u32 v197, v184, v196                              // 000000002CC4: D28500C5 000389B8
	v_mul_hi_u32 v197, v196, v197                              // 000000002CCC: D28600C5 00038BC4
	v_add_u32_e32 v196, v196, v197                             // 000000002CD4: 69898BC4
	v_mul_hi_u32 v196, v182, v196                              // 000000002CD8: D28600C4 000389B6
	v_mul_lo_u32 v197, v196, s53                               // 000000002CE0: D28500C5 00006BC4
	v_sub_u32_e32 v199, v182, v197                             // 000000002CE8: 6B8F8BB6
	v_add_u32_e32 v198, 1, v196                                // 000000002CEC: 698D8881
	v_cmp_le_u32_e32 vcc, s53, v199                            // 000000002CF0: 7D978E35
	v_subrev_u32_e32 v197, s53, v199                           // 000000002CF4: 6D8B8E35
	s_nop 0                                                    // 000000002CF8: BF800000
	v_cndmask_b32_e32 v196, v196, v198, vcc                    // 000000002CFC: 01898DC4
	v_cndmask_b32_e32 v199, v199, v197, vcc                    // 000000002D00: 018F8BC7
	v_add_u32_e32 v197, 1, v196                                // 000000002D04: 698B8881
	v_cmp_le_u32_e32 vcc, s53, v199                            // 000000002D08: 7D978E35
	s_nop 1                                                    // 000000002D0C: BF800001
	v_cndmask_b32_e32 v184, v196, v197, vcc                    // 000000002D10: 01718BC4
	v_mul_i32_i24_e32 v198, s53, v184                          // 000000002D14: 0D8D7035
	v_sub_u32_e32 v198, v182, v198                             // 000000002D18: 6B8D8DB6
	v_lshlrev_b32_e32 v199, 2, v198                            // 000000002D1C: 258F8C82
	v_mul_u32_u24_e32 v235, s54, v184                          // 000000002D20: 11D77036
	v_add_u32_e32 v235, v199, v235                             // 000000002D24: 69D7D7C7
	v_mul_u32_u24_e32 v199, 0x200, v198                        // 000000002D28: 118F8CFF 00000200
	v_mul_u32_u24_e32 v239, s55, v184                          // 000000002D30: 11DF7037
	v_add3_u32 v239, v199, v239, v188                          // 000000002D34: D1FF00EF 06F3DFC7
	v_cvt_f32_u32_e32 v196, s53                                // 000000002D3C: 7F880C35
	v_sub_i32 v184, 0, s53                                     // 000000002D40: D29D00B8 00006A80
	v_rcp_iflag_f32_e32 v196, v196                             // 000000002D48: 7F8847C4
	s_nop 0                                                    // 000000002D4C: BF800000
	v_mul_f32_e32 v196, 0x4f7ffffe, v196                       // 000000002D50: 0B8988FF 4F7FFFFE
	v_cvt_u32_f32_e32 v196, v196                               // 000000002D58: 7F880FC4
	v_mul_lo_u32 v197, v184, v196                              // 000000002D5C: D28500C5 000389B8
	v_mul_hi_u32 v197, v196, v197                              // 000000002D64: D28600C5 00038BC4
	v_add_u32_e32 v196, v196, v197                             // 000000002D6C: 69898BC4
	v_mul_hi_u32 v196, v183, v196                              // 000000002D70: D28600C4 000389B7
	v_mul_lo_u32 v197, v196, s53                               // 000000002D78: D28500C5 00006BC4
	v_sub_u32_e32 v199, v183, v197                             // 000000002D80: 6B8F8BB7
	v_add_u32_e32 v198, 1, v196                                // 000000002D84: 698D8881
	v_cmp_le_u32_e32 vcc, s53, v199                            // 000000002D88: 7D978E35
	v_subrev_u32_e32 v197, s53, v199                           // 000000002D8C: 6D8B8E35
	s_nop 0                                                    // 000000002D90: BF800000
	v_cndmask_b32_e32 v196, v196, v198, vcc                    // 000000002D94: 01898DC4
	v_cndmask_b32_e32 v199, v199, v197, vcc                    // 000000002D98: 018F8BC7
	v_add_u32_e32 v197, 1, v196                                // 000000002D9C: 698B8881
	v_cmp_le_u32_e32 vcc, s53, v199                            // 000000002DA0: 7D978E35
	s_nop 1                                                    // 000000002DA4: BF800001
	v_cndmask_b32_e32 v184, v196, v197, vcc                    // 000000002DA8: 01718BC4
	v_mul_i32_i24_e32 v198, s53, v184                          // 000000002DAC: 0D8D7035
	v_sub_u32_e32 v198, v183, v198                             // 000000002DB0: 6B8D8DB7
	v_lshlrev_b32_e32 v199, 2, v198                            // 000000002DB4: 258F8C82
	v_mul_u32_u24_e32 v236, s54, v184                          // 000000002DB8: 11D97036
	v_add_u32_e32 v236, v199, v236                             // 000000002DBC: 69D9D9C7
	v_mul_u32_u24_e32 v199, 0x200, v198                        // 000000002DC0: 118F8CFF 00000200
	v_mul_u32_u24_e32 v240, s55, v184                          // 000000002DC8: 11E17037
	v_add3_u32 v240, v199, v240, v188                          // 000000002DCC: D1FF00F0 06F3E1C7
	s_mul_i32 s54, s57, 64                                     // 000000002DD4: 9236C039
	v_and_b32_e32 v196, 15, v0                                 // 000000002DD8: 2788008F
	v_mul_i32_i24_e32 v196, 0x100, v196                        // 000000002DDC: 0D8988FF 00000100
	v_lshrrev_b32_e32 v197, 4, v0                              // 000000002DE4: 218A0084
	v_mul_i32_i24_e32 v197, 16, v197                           // 000000002DE8: 0D8B8A90
	v_add3_u32 v241, v196, v197, s54                           // 000000002DEC: D1FF00F1 00DB8BC4
	v_and_b32_e32 v243, 15, v0                                 // 000000002DF4: 27E6008F
	v_mul_i32_i24_e32 v243, 16, v243                           // 000000002DF8: 0DE7E690
	s_mul_i32 s54, s57, 0x240                                  // 000000002DFC: 9236FF39 00000240
	v_lshrrev_b32_e32 v196, 4, v0                              // 000000002E04: 21880084
	v_lshlrev_b32_e32 v196, 7, v196                            // 000000002E08: 25898887
	v_lshrrev_b32_e32 v197, 5, v0                              // 000000002E0C: 218A0085
	v_lshlrev_b32_e32 v197, 5, v197                            // 000000002E10: 258B8A85
	v_and_b32_e32 v198, 15, v0                                 // 000000002E14: 278C008F
	v_lshlrev_b32_e32 v198, 3, v198                            // 000000002E18: 258D8C83
	v_add3_u32 v196, v196, v197, v198                          // 000000002E1C: D1FF00C4 071B8BC4
	v_add_u32_e32 v242, s54, v196                              // 000000002E24: 69E58836
	v_and_b32_e32 v196, 15, v0                                 // 000000002E28: 2788008F
	v_lshlrev_b32_e32 v197, 7, v196                            // 000000002E2C: 258B8887
	v_lshrrev_b32_e32 v196, 1, v196                            // 000000002E30: 21898881
	v_lshlrev_b32_e32 v196, 5, v196                            // 000000002E34: 25898885
	v_lshrrev_b32_e32 v198, 4, v0                              // 000000002E38: 218C0084
	v_lshlrev_b32_e32 v198, 4, v198                            // 000000002E3C: 258D8C84
	v_add3_u32 v244, v196, v197, v198                          // 000000002E40: D1FF00F4 071B8BC4
	s_mul_i32 s54, s57, 0x240                                  // 000000002E48: 9236FF39 00000240
	v_lshrrev_b32_e32 v196, 5, v0                              // 000000002E50: 21880085
	v_mul_i32_i24_e32 v196, 0x120, v196                        // 000000002E54: 0D8988FF 00000120
	v_lshrrev_b32_e32 v197, 4, v0                              // 000000002E5C: 218A0084
	v_and_b32_e32 v197, 1, v197                                // 000000002E60: 278B8A81
	v_lshlrev_b32_e32 v197, 3, v197                            // 000000002E64: 258B8A83
	v_and_b32_e32 v198, 15, v0                                 // 000000002E68: 278C008F
	v_lshlrev_b32_e32 v198, 4, v198                            // 000000002E6C: 258D8C84
	v_add3_u32 v245, v196, v197, v198                          // 000000002E70: D1FF00F5 071B8BC4
	v_add_u32_e32 v245, s54, v245                              // 000000002E78: 69EBEA36
	s_lshl_b32 s54, s57, 6                                     // 000000002E7C: 8E368639
	v_lshrrev_b32_e32 v196, 4, v0                              // 000000002E80: 21880084
	v_lshlrev_b32_e32 v196, 4, v196                            // 000000002E84: 25898884
	v_and_b32_e32 v197, 15, v0                                 // 000000002E88: 278A008F
	v_mul_i32_i24_e32 v197, 0x120, v197                        // 000000002E8C: 0D8B8AFF 00000120
	v_add3_u32 v246, v196, v197, s54                           // 000000002E94: D1FF00F6 00DB8BC4
	v_lshrrev_b32_e32 v196, 4, v0                              // 000000002E9C: 21880084
	v_and_b32_e32 v197, 15, v0                                 // 000000002EA0: 278A008F
	v_lshlrev_b32_e32 v198, 4, v197                            // 000000002EA4: 258D8A84
	v_mul_i32_i24_e32 v225, 0x4000, v196                       // 000000002EA8: 0DC388FF 00004000
	v_add_u32_e32 v225, v198, v225                             // 000000002EB0: 69C3C3C6
	v_add_u32_e32 v226, 0x10000, v225                          // 000000002EB4: 69C5C2FF 00010000
	v_mul_i32_i24_e32 v227, 0x800, v196                        // 000000002EBC: 0DC788FF 00000800
	v_add_u32_e32 v227, v198, v227                             // 000000002EC4: 69C7C7C6
	v_add_u32_e32 v228, 0x2000, v227                           // 000000002EC8: 69C9C6FF 00002000
	v_add_u32_e32 v229, 0x2000, v228                           // 000000002ED0: 69CBC8FF 00002000
	v_add_u32_e32 v230, 0x2000, v229                           // 000000002ED8: 69CDCAFF 00002000
	v_mov_b32_e32 v231, 0                                      // 000000002EE0: 7FCE0280
	v_mov_b32_e32 v232, 0                                      // 000000002EE4: 7FD00280
	s_lshl_b32 s54, s57, 4                                     // 000000002EE8: 8E368439
	v_lshrrev_b32_e32 v215, 4, v0                              // 000000002EEC: 21AE0084
	v_lshlrev_b32_e32 v215, 2, v215                            // 000000002EF0: 25AFAE82
	v_add_u32_e32 v215, s54, v215                              // 000000002EF4: 69AFAE36
	s_lshl_b32 s54, s57, 6                                     // 000000002EF8: 8E368639
	v_lshrrev_b32_e32 v196, 4, v0                              // 000000002EFC: 21880084
	v_lshlrev_b32_e32 v196, 8, v196                            // 000000002F00: 25898888
	v_and_b32_e32 v197, 15, v0                                 // 000000002F04: 278A008F
	v_lshlrev_b32_e32 v197, 2, v197                            // 000000002F08: 258B8A82
	v_add3_u32 v247, s54, v196, v197                           // 000000002F0C: D1FF00F7 07178836
	v_lshlrev_b32_e32 v247, 2, v247                            // 000000002F14: 25EFEE82
	v_and_b32_e32 v248, 15, v0                                 // 000000002F18: 27F0008F
	v_lshlrev_b32_e32 v248, 4, v248                            // 000000002F1C: 25F1F084
	s_lshl_b32 s54, s57, 8                                     // 000000002F20: 8E368839
	v_and_b32_e32 v197, 15, v0                                 // 000000002F24: 278A008F
	v_lshlrev_b32_e32 v197, 4, v197                            // 000000002F28: 258B8A84
	v_lshrrev_b32_e32 v198, 4, v0                              // 000000002F2C: 218C0084
	v_lshlrev_b32_e32 v198, 2, v198                            // 000000002F30: 258D8C82
	v_add3_u32 v249, v197, v198, s54                           // 000000002F34: D1FF00F9 00DB8DC5
	v_and_b32_e32 v196, 15, v0                                 // 000000002F3C: 2788008F
	v_lshlrev_b32_e32 v196, 4, v196                            // 000000002F40: 25898884
	v_lshrrev_b32_e32 v197, 4, v0                              // 000000002F44: 218A0084
	v_lshlrev_b32_e32 v197, 8, v197                            // 000000002F48: 258B8A88
	v_add_u32_e32 v250, v196, v197                             // 000000002F4C: 69F58BC4
	s_waitcnt lgkmcnt(0)                                       // 000000002F50: BF8CC07F

0000000000002f54 <label_0255>:
	s_cmp_lt_i32 s80, s81                                      // 000000002F54: BF045150
	s_cbranch_scc0 label_5639                                  // 000000002F58: BF8453E2
	s_lshl_b32 s54, s80, 5                                     // 000000002F5C: 8E368550
	s_load_dwordx8 s[72:79], s[38:39], s54                     // 000000002F60: C00C1213 00000036
	v_mov_b32_e32 v152, 0xff7fffff                             // 000000002F68: 7F3002FF FF7FFFFF
	v_mov_b64_e32 v[160:161], 0                                // 000000002F70: 7F407080
	v_mov_b64_e32 v[168:169], 0                                // 000000002F74: 7F507080
	v_mov_b64_e32 v[144:145], 0                                // 000000002F78: 7F207080
	v_mov_b32_e32 v153, 0xff7fffff                             // 000000002F7C: 7F3202FF FF7FFFFF
	v_mov_b64_e32 v[162:163], 0                                // 000000002F84: 7F447080
	v_mov_b64_e32 v[170:171], 0                                // 000000002F88: 7F547080
	v_mov_b64_e32 v[146:147], 0                                // 000000002F8C: 7F247080
	v_mov_b32_e32 v154, 0xff7fffff                             // 000000002F90: 7F3402FF FF7FFFFF
	v_mov_b64_e32 v[164:165], 0                                // 000000002F98: 7F487080
	v_mov_b64_e32 v[172:173], 0                                // 000000002F9C: 7F587080
	v_mov_b64_e32 v[148:149], 0                                // 000000002FA0: 7F287080
	v_mov_b32_e32 v155, 0xff7fffff                             // 000000002FA4: 7F3602FF FF7FFFFF
	v_mov_b64_e32 v[166:167], 0                                // 000000002FAC: 7F4C7080
	v_mov_b64_e32 v[174:175], 0                                // 000000002FB0: 7F5C7080
	v_mov_b64_e32 v[150:151], 0                                // 000000002FB4: 7F2C7080
	v_mov_b32_e32 v100, 0                                      // 000000002FB8: 7EC80280
	v_mov_b32_e32 v68, 0                                       // 000000002FBC: 7E880280
	v_mov_b32_e32 v101, 0                                      // 000000002FC0: 7ECA0280
	v_mov_b32_e32 v69, 0                                       // 000000002FC4: 7E8A0280
	v_mov_b32_e32 v102, 0                                      // 000000002FC8: 7ECC0280
	v_mov_b32_e32 v70, 0                                       // 000000002FCC: 7E8C0280
	v_mov_b32_e32 v103, 0                                      // 000000002FD0: 7ECE0280
	v_mov_b32_e32 v71, 0                                       // 000000002FD4: 7E8E0280
	v_mov_b32_e32 v104, 0                                      // 000000002FD8: 7ED00280
	v_mov_b32_e32 v72, 0                                       // 000000002FDC: 7E900280
	v_mov_b32_e32 v105, 0                                      // 000000002FE0: 7ED20280
	v_mov_b32_e32 v73, 0                                       // 000000002FE4: 7E920280
	v_mov_b32_e32 v106, 0                                      // 000000002FE8: 7ED40280
	v_mov_b32_e32 v74, 0                                       // 000000002FEC: 7E940280
	v_mov_b32_e32 v107, 0                                      // 000000002FF0: 7ED60280
	v_mov_b32_e32 v75, 0                                       // 000000002FF4: 7E960280
	v_mov_b32_e32 v108, 0                                      // 000000002FF8: 7ED80280
	v_mov_b32_e32 v76, 0                                       // 000000002FFC: 7E980280
	v_mov_b32_e32 v109, 0                                      // 000000003000: 7EDA0280
	v_mov_b32_e32 v77, 0                                       // 000000003004: 7E9A0280
	v_mov_b32_e32 v110, 0                                      // 000000003008: 7EDC0280
	v_mov_b32_e32 v78, 0                                       // 00000000300C: 7E9C0280
	v_mov_b32_e32 v111, 0                                      // 000000003010: 7EDE0280
	v_mov_b32_e32 v79, 0                                       // 000000003014: 7E9E0280
	v_mov_b32_e32 v112, 0                                      // 000000003018: 7EE00280
	v_mov_b32_e32 v80, 0                                       // 00000000301C: 7EA00280
	v_mov_b32_e32 v113, 0                                      // 000000003020: 7EE20280
	v_mov_b32_e32 v81, 0                                       // 000000003024: 7EA20280
	v_mov_b32_e32 v114, 0                                      // 000000003028: 7EE40280
	v_mov_b32_e32 v82, 0                                       // 00000000302C: 7EA40280
	v_mov_b32_e32 v115, 0                                      // 000000003030: 7EE60280
	v_mov_b32_e32 v83, 0                                       // 000000003034: 7EA60280
	v_mov_b32_e32 v116, 0                                      // 000000003038: 7EE80280
	v_mov_b32_e32 v84, 0                                       // 00000000303C: 7EA80280
	v_mov_b32_e32 v117, 0                                      // 000000003040: 7EEA0280
	v_mov_b32_e32 v85, 0                                       // 000000003044: 7EAA0280
	v_mov_b32_e32 v118, 0                                      // 000000003048: 7EEC0280
	v_mov_b32_e32 v86, 0                                       // 00000000304C: 7EAC0280
	v_mov_b32_e32 v119, 0                                      // 000000003050: 7EEE0280
	v_mov_b32_e32 v87, 0                                       // 000000003054: 7EAE0280
	v_mov_b32_e32 v120, 0                                      // 000000003058: 7EF00280
	v_mov_b32_e32 v88, 0                                       // 00000000305C: 7EB00280
	v_mov_b32_e32 v121, 0                                      // 000000003060: 7EF20280
	v_mov_b32_e32 v89, 0                                       // 000000003064: 7EB20280
	v_mov_b32_e32 v122, 0                                      // 000000003068: 7EF40280
	v_mov_b32_e32 v90, 0                                       // 00000000306C: 7EB40280
	v_mov_b32_e32 v123, 0                                      // 000000003070: 7EF60280
	v_mov_b32_e32 v91, 0                                       // 000000003074: 7EB60280
	v_mov_b32_e32 v124, 0                                      // 000000003078: 7EF80280
	v_mov_b32_e32 v92, 0                                       // 00000000307C: 7EB80280
	v_mov_b32_e32 v125, 0                                      // 000000003080: 7EFA0280
	v_mov_b32_e32 v93, 0                                       // 000000003084: 7EBA0280
	v_mov_b32_e32 v126, 0                                      // 000000003088: 7EFC0280
	v_mov_b32_e32 v94, 0                                       // 00000000308C: 7EBC0280
	v_mov_b32_e32 v127, 0                                      // 000000003090: 7EFE0280
	v_mov_b32_e32 v95, 0                                       // 000000003094: 7EBE0280
	v_mov_b32_e32 v128, 0                                      // 000000003098: 7F000280
	v_mov_b32_e32 v96, 0                                       // 00000000309C: 7EC00280
	v_mov_b32_e32 v129, 0                                      // 0000000030A0: 7F020280
	v_mov_b32_e32 v97, 0                                       // 0000000030A4: 7EC20280
	v_mov_b32_e32 v130, 0                                      // 0000000030A8: 7F040280
	v_mov_b32_e32 v98, 0                                       // 0000000030AC: 7EC40280
	v_mov_b32_e32 v131, 0                                      // 0000000030B0: 7F060280
	v_mov_b32_e32 v99, 0                                       // 0000000030B4: 7EC60280
	s_waitcnt lgkmcnt(0)                                       // 0000000030B8: BF8CC07F
	s_mul_i32 s64, s76, 0x400                                  // 0000000030BC: 9240FF4C 00000400
	s_lshl_b32 s54, s72, 2                                     // 0000000030C4: 8E368248
	s_load_dword s60, s[44:45], s54                            // 0000000030C8: C0000F16 00000036
	s_load_dword s61, s[40:41], s54                            // 0000000030D0: C0000F54 00000036
	s_lshl_b32 s68, s76, 2                                     // 0000000030D8: 8E44824C
	s_cmp_lt_u32 s76, s77                                      // 0000000030DC: BF0A4D4C
	s_cselect_b32 s68, s68, 0                                  // 0000000030E0: 85448044
	s_addk_i32 s76, 0x1                                        // 0000000030E4: B74C0001
	s_load_dword s59, s[42:43], s68                            // 0000000030E8: C0000ED5 00000044
	s_and_b32 s79, s79, 0xffff                                 // 0000000030F0: 864FFF4F 0000FFFF
	v_cvt_f32_u32_e32 v196, s53                                // 0000000030F8: 7F880C35
	s_sub_i32 s78, 0, s53                                      // 0000000030FC: 81CE3580
	v_rcp_iflag_f32_e32 v196, v196                             // 000000003100: 7F8847C4
	s_nop 0                                                    // 000000003104: BF800000
	v_mul_f32_e32 v196, 0x4f7ffffe, v196                       // 000000003108: 0B8988FF 4F7FFFFE
	v_cvt_u32_f32_e32 v196, v196                               // 000000003110: 7F880FC4
	v_mul_lo_u32 v197, s78, v196                               // 000000003114: D28500C5 0003884E
	v_mul_hi_u32 v197, v196, v197                              // 00000000311C: D28600C5 00038BC4
	v_add_u32_e32 v196, v196, v197                             // 000000003124: 69898BC4
	v_mul_hi_u32 v196, s79, v196                               // 000000003128: D28600C4 0003884F
	v_mul_lo_u32 v197, v196, s53                               // 000000003130: D28500C5 00006BC4
	v_sub_u32_e32 v199, s79, v197                              // 000000003138: 6B8F8A4F
	v_add_u32_e32 v198, 1, v196                                // 00000000313C: 698D8881
	v_cmp_le_u32_e32 vcc, s53, v199                            // 000000003140: 7D978E35
	v_subrev_u32_e32 v197, s53, v199                           // 000000003144: 6D8B8E35
	s_nop 0                                                    // 000000003148: BF800000
	v_cndmask_b32_e32 v196, v196, v198, vcc                    // 00000000314C: 01898DC4
	v_cndmask_b32_e32 v199, v199, v197, vcc                    // 000000003150: 018F8BC7
	v_add_u32_e32 v197, 1, v196                                // 000000003154: 698B8881
	v_cmp_le_u32_e32 vcc, s53, v199                            // 000000003158: 7D978E35
	s_nop 1                                                    // 00000000315C: BF800001
	v_cndmask_b32_e32 v199, v196, v197, vcc                    // 000000003160: 018F8BC4
	s_nop 3                                                    // 000000003164: BF800003
	v_readfirstlane_b32 s78, v199                              // 000000003168: 7E9C05C7
	s_nop 3                                                    // 00000000316C: BF800003
	s_mul_i32 s65, s53, 0x100                                  // 000000003170: 9241FF35 00000100
	s_add_u32 s54, s52, 1                                      // 000000003178: 80368134
	s_mul_i32 s54, s49, s54                                    // 00000000317C: 92363631
	s_mul_i32 s54, s72, s54                                    // 000000003180: 92363648
	s_mul_i32 s55, s78, s65                                    // 000000003184: 9237414E
	s_add_u32 s54, s54, s55                                    // 000000003188: 80363736
	s_add_u32 s8, s84, s54                                     // 00000000318C: 80083654
	s_addc_u32 s9, s85, 0                                      // 000000003190: 82098055
	s_mul_i32 s54, s52, s49                                    // 000000003194: 92363134
	s_add_u32 s10, s54, s65                                    // 000000003198: 800A4136
	s_add_u32 s54, s52, 1                                      // 00000000319C: 80368134
	s_mul_i32 s54, s54, s67                                    // 0000000031A0: 92364336
	s_mul_i32 s54, s54, s72                                    // 0000000031A4: 92364836
	s_mul_i32 s55, s78, s65                                    // 0000000031A8: 9237414E
	s_add_u32 s54, s54, s55                                    // 0000000031AC: 80363736
	s_add_u32 s4, s82, s54                                     // 0000000031B0: 80043652
	s_addc_u32 s5, s83, 0                                      // 0000000031B4: 82058053
	s_mul_i32 s54, s52, s67                                    // 0000000031B8: 92364334
	s_add_u32 s6, s54, s65                                     // 0000000031BC: 80064136
	s_mul_i32 s55, s53, 0x200                                  // 0000000031C0: 9237FF35 00000200
	s_mul_i32 s54, s73, s48                                    // 0000000031C8: 92363049
	s_add_u32 s54, s54, s78                                    // 0000000031CC: 80364E36
	s_mul_i32 s54, s54, s55                                    // 0000000031D0: 92363736
	s_add_u32 s28, s94, s54                                    // 0000000031D4: 801C365E
	s_addc_u32 s29, s95, 0                                     // 0000000031D8: 821D805F
	s_add_u32 s54, s52, 1                                      // 0000000031DC: 80368134
	s_mul_i32 s54, s54, s48                                    // 0000000031E0: 92363036
	s_mul_i32 s30, s54, s55                                    // 0000000031E4: 921E3736
	s_mul_i32 s55, s53, 4                                      // 0000000031E8: 92378435
	s_mul_i32 s54, s73, s48                                    // 0000000031EC: 92363049
	s_add_u32 s54, s54, s78                                    // 0000000031F0: 80364E36
	s_mul_i32 s54, s54, s55                                    // 0000000031F4: 92363736
	s_add_u32 s32, s96, s54                                    // 0000000031F8: 80203660
	s_addc_u32 s33, s97, 0                                     // 0000000031FC: 82218061
	s_add_u32 s54, s52, 1                                      // 000000003200: 80368134
	s_mul_i32 s54, s54, s48                                    // 000000003204: 92363036
	s_mul_i32 s34, s54, s55                                    // 000000003208: 92223736
	buffer_load_dwordx4 v[4:7], v217, s[8:11], 0 offen         // 00000000320C: E05C1000 800204D9
	buffer_load_dwordx4 v[8:11], v218, s[8:11], 0 offen        // 000000003214: E05C1000 800208DA
	buffer_load_dwordx4 v[12:15], v219, s[8:11], 0 offen       // 00000000321C: E05C1000 80020CDB
	buffer_load_dwordx4 v[16:19], v220, s[8:11], 0 offen       // 000000003224: E05C1000 800210DC
	s_waitcnt lgkmcnt(0)                                       // 00000000322C: BF8CC07F
	s_mul_i32 s54, s60, 0x400                                  // 000000003230: 9236FF3C 00000400
	s_sub_i32 s64, s64, s54                                    // 000000003238: 81C03640
	s_mul_i32 s69, s59, s50                                    // 00000000323C: 9245323B
	s_mul_i32 s71, s59, s66                                    // 000000003240: 9247423B
	s_mul_i32 s54, s78, s51                                    // 000000003244: 9236334E
	s_add_u32 s69, s69, s54                                    // 000000003248: 80453645
	s_mov_b32 s70, s69                                         // 00000000324C: BEC60045
	s_mul_i32 s54, s78, 4                                      // 000000003250: 9236844E
	s_add_u32 s71, s71, s54                                    // 000000003254: 80473647
	s_add_u32 s12, s86, s69                                    // 000000003258: 800C4556
	s_addc_u32 s13, s87, 0                                     // 00000000325C: 820D8057
	s_add_u32 s16, s88, s70                                    // 000000003260: 80104658
	s_addc_u32 s17, s89, 0                                     // 000000003264: 82118059
	s_add_u32 s20, s90, s71                                    // 000000003268: 8014475A
	s_addc_u32 s21, s91, 0                                     // 00000000326C: 8215805B
	s_add_u32 s24, s92, s71                                    // 000000003270: 8018475C
	s_addc_u32 s25, s93, 0                                     // 000000003274: 8219805D
	s_add_u32 s69, s69, 0x1000                                 // 000000003278: 8045FF45 00001000
	s_add_u32 s70, s70, 0x8000                                 // 000000003280: 8046FF46 00008000
	buffer_load_dwordx4 a[32:35], v225, s[12:15], 0 offen      // 000000003288: E05C1000 808320E1
	buffer_load_dwordx4 a[36:39], v226, s[12:15], 0 offen      // 000000003290: E05C1000 808324E2
	buffer_load_dwordx4 a[40:43], v225, s[12:15], 0 offen offset:1024// 000000003298: E05C1400 808328E1
	buffer_load_dwordx4 a[44:47], v226, s[12:15], 0 offen offset:1024// 0000000032A0: E05C1400 80832CE2
	buffer_load_dwordx4 a[48:51], v225, s[12:15], 0 offen offset:2048// 0000000032A8: E05C1800 808330E1
	buffer_load_dwordx4 a[52:55], v226, s[12:15], 0 offen offset:2048// 0000000032B0: E05C1800 808334E2
	buffer_load_dwordx4 a[56:59], v225, s[12:15], 0 offen offset:3072// 0000000032B8: E05C1C00 808338E1
	buffer_load_dwordx4 a[60:63], v226, s[12:15], 0 offen offset:3072// 0000000032C0: E05C1C00 80833CE2
	buffer_load_dword v140, v231, s[20:23], 0 offen            // 0000000032C8: E0501000 80058CE7
	buffer_load_dword v142, v232, s[24:27], 0 offen            // 0000000032D0: E0501000 80068EE8
	buffer_load_dwordx4 a[96:99], v227, s[16:19], 0 offen      // 0000000032D8: E05C1000 808460E3
	buffer_load_dwordx4 a[100:103], v228, s[16:19], 0 offen    // 0000000032E0: E05C1000 808464E4
	buffer_load_dwordx4 a[104:107], v229, s[16:19], 0 offen    // 0000000032E8: E05C1000 808468E5
	buffer_load_dwordx4 a[108:111], v230, s[16:19], 0 offen    // 0000000032F0: E05C1000 80846CE6
	buffer_load_dwordx4 a[112:115], v227, s[16:19], 0 offen offset:1024// 0000000032F8: E05C1400 808470E3
	buffer_load_dwordx4 a[116:119], v228, s[16:19], 0 offen offset:1024// 000000003300: E05C1400 808474E4
	buffer_load_dwordx4 a[120:123], v229, s[16:19], 0 offen offset:1024// 000000003308: E05C1400 808478E5
	buffer_load_dwordx4 a[124:127], v230, s[16:19], 0 offen offset:1024// 000000003310: E05C1400 80847CE6
	s_sub_i32 s54, s77, s60                                    // 000000003318: 81B63C4D
	s_mul_i32 s62, s54, 0x400                                  // 00000000331C: 923EFF36 00000400
	s_cmp_lt_i32 s62, s61                                      // 000000003324: BF043D3E
	s_cselect_b32 s62, s62, s61                                // 000000003328: 853E3D3E
	s_sub_i32 s54, s61, s52                                    // 00000000332C: 81B6343D
	v_and_b32_e32 v180, 15, v0                                 // 000000003330: 2768008F
	v_add_u32_e32 v181, 16, v180                               // 000000003334: 696B6890
	v_add_u32_e32 v182, 16, v181                               // 000000003338: 696D6A90
	v_add_u32_e32 v183, 16, v182                               // 00000000333C: 696F6C90
	s_cmp_lt_i32 s62, s54                                      // 000000003340: BF04363E
	s_cselect_b32 s63, s62, s54                                // 000000003344: 853F363E
	s_and_b32 s63, s63, 0xffffff00                             // 000000003348: 863FFF3F FFFFFF00
	v_cvt_f32_u32_e32 v196, s53                                // 000000003350: 7F880C35
	v_sub_i32 v184, 0, s53                                     // 000000003354: D29D00B8 00006A80
	v_rcp_iflag_f32_e32 v196, v196                             // 00000000335C: 7F8847C4
	s_nop 0                                                    // 000000003360: BF800000
	v_mul_f32_e32 v196, 0x4f7ffffe, v196                       // 000000003364: 0B8988FF 4F7FFFFE
	v_cvt_u32_f32_e32 v196, v196                               // 00000000336C: 7F880FC4
	v_mul_lo_u32 v197, v184, v196                              // 000000003370: D28500C5 000389B8
	v_mul_hi_u32 v197, v196, v197                              // 000000003378: D28600C5 00038BC4
	v_add_u32_e32 v196, v196, v197                             // 000000003380: 69898BC4
	v_mul_hi_u32 v196, v180, v196                              // 000000003384: D28600C4 000389B4
	v_mul_lo_u32 v197, v196, s53                               // 00000000338C: D28500C5 00006BC4
	v_sub_u32_e32 v199, v180, v197                             // 000000003394: 6B8F8BB4
	v_add_u32_e32 v198, 1, v196                                // 000000003398: 698D8881
	v_cmp_le_u32_e32 vcc, s53, v199                            // 00000000339C: 7D978E35
	v_subrev_u32_e32 v197, s53, v199                           // 0000000033A0: 6D8B8E35
	s_nop 0                                                    // 0000000033A4: BF800000
	v_cndmask_b32_e32 v196, v196, v198, vcc                    // 0000000033A8: 01898DC4
	v_cndmask_b32_e32 v199, v199, v197, vcc                    // 0000000033AC: 018F8BC7
	v_add_u32_e32 v197, 1, v196                                // 0000000033B0: 698B8881
	v_cmp_le_u32_e32 vcc, s53, v199                            // 0000000033B4: 7D978E35
	s_nop 1                                                    // 0000000033B8: BF800001
	v_cndmask_b32_e32 v184, v196, v197, vcc                    // 0000000033BC: 01718BC4
	v_add_u32_e32 v211, s54, v184                              // 0000000033C0: 69A77036
	v_cmp_lt_u32_e32 vcc, s62, v211                            // 0000000033C4: 7D93A63E
	v_mov_b32_e32 v197, s62                                    // 0000000033C8: 7F8A023E
	v_cndmask_b32_e32 v211, v211, v197, vcc                    // 0000000033CC: 01A78BD3
	v_cvt_f32_u32_e32 v196, s53                                // 0000000033D0: 7F880C35
	v_sub_i32 v184, 0, s53                                     // 0000000033D4: D29D00B8 00006A80
	v_rcp_iflag_f32_e32 v196, v196                             // 0000000033DC: 7F8847C4
	s_nop 0                                                    // 0000000033E0: BF800000
	v_mul_f32_e32 v196, 0x4f7ffffe, v196                       // 0000000033E4: 0B8988FF 4F7FFFFE
	v_cvt_u32_f32_e32 v196, v196                               // 0000000033EC: 7F880FC4
	v_mul_lo_u32 v197, v184, v196                              // 0000000033F0: D28500C5 000389B8
	v_mul_hi_u32 v197, v196, v197                              // 0000000033F8: D28600C5 00038BC4
	v_add_u32_e32 v196, v196, v197                             // 000000003400: 69898BC4
	v_mul_hi_u32 v196, v181, v196                              // 000000003404: D28600C4 000389B5
	v_mul_lo_u32 v197, v196, s53                               // 00000000340C: D28500C5 00006BC4
	v_sub_u32_e32 v199, v181, v197                             // 000000003414: 6B8F8BB5
	v_add_u32_e32 v198, 1, v196                                // 000000003418: 698D8881
	v_cmp_le_u32_e32 vcc, s53, v199                            // 00000000341C: 7D978E35
	v_subrev_u32_e32 v197, s53, v199                           // 000000003420: 6D8B8E35
	s_nop 0                                                    // 000000003424: BF800000
	v_cndmask_b32_e32 v196, v196, v198, vcc                    // 000000003428: 01898DC4
	v_cndmask_b32_e32 v199, v199, v197, vcc                    // 00000000342C: 018F8BC7
	v_add_u32_e32 v197, 1, v196                                // 000000003430: 698B8881
	v_cmp_le_u32_e32 vcc, s53, v199                            // 000000003434: 7D978E35
	s_nop 1                                                    // 000000003438: BF800001
	v_cndmask_b32_e32 v184, v196, v197, vcc                    // 00000000343C: 01718BC4
	v_add_u32_e32 v212, s54, v184                              // 000000003440: 69A97036
	v_cmp_lt_u32_e32 vcc, s62, v212                            // 000000003444: 7D93A83E
	v_mov_b32_e32 v197, s62                                    // 000000003448: 7F8A023E
	v_cndmask_b32_e32 v212, v212, v197, vcc                    // 00000000344C: 01A98BD4
	v_cvt_f32_u32_e32 v196, s53                                // 000000003450: 7F880C35
	v_sub_i32 v184, 0, s53                                     // 000000003454: D29D00B8 00006A80
	v_rcp_iflag_f32_e32 v196, v196                             // 00000000345C: 7F8847C4
	s_nop 0                                                    // 000000003460: BF800000
	v_mul_f32_e32 v196, 0x4f7ffffe, v196                       // 000000003464: 0B8988FF 4F7FFFFE
	v_cvt_u32_f32_e32 v196, v196                               // 00000000346C: 7F880FC4
	v_mul_lo_u32 v197, v184, v196                              // 000000003470: D28500C5 000389B8
	v_mul_hi_u32 v197, v196, v197                              // 000000003478: D28600C5 00038BC4
	v_add_u32_e32 v196, v196, v197                             // 000000003480: 69898BC4
	v_mul_hi_u32 v196, v182, v196                              // 000000003484: D28600C4 000389B6
	v_mul_lo_u32 v197, v196, s53                               // 00000000348C: D28500C5 00006BC4
	v_sub_u32_e32 v199, v182, v197                             // 000000003494: 6B8F8BB6
	v_add_u32_e32 v198, 1, v196                                // 000000003498: 698D8881
	v_cmp_le_u32_e32 vcc, s53, v199                            // 00000000349C: 7D978E35
	v_subrev_u32_e32 v197, s53, v199                           // 0000000034A0: 6D8B8E35
	s_nop 0                                                    // 0000000034A4: BF800000
	v_cndmask_b32_e32 v196, v196, v198, vcc                    // 0000000034A8: 01898DC4
	v_cndmask_b32_e32 v199, v199, v197, vcc                    // 0000000034AC: 018F8BC7
	v_add_u32_e32 v197, 1, v196                                // 0000000034B0: 698B8881
	v_cmp_le_u32_e32 vcc, s53, v199                            // 0000000034B4: 7D978E35
	s_nop 1                                                    // 0000000034B8: BF800001
	v_cndmask_b32_e32 v184, v196, v197, vcc                    // 0000000034BC: 01718BC4
	v_add_u32_e32 v213, s54, v184                              // 0000000034C0: 69AB7036
	v_cmp_lt_u32_e32 vcc, s62, v213                            // 0000000034C4: 7D93AA3E
	v_mov_b32_e32 v197, s62                                    // 0000000034C8: 7F8A023E
	v_cndmask_b32_e32 v213, v213, v197, vcc                    // 0000000034CC: 01AB8BD5
	v_cvt_f32_u32_e32 v196, s53                                // 0000000034D0: 7F880C35
	v_sub_i32 v184, 0, s53                                     // 0000000034D4: D29D00B8 00006A80
	v_rcp_iflag_f32_e32 v196, v196                             // 0000000034DC: 7F8847C4
	s_nop 0                                                    // 0000000034E0: BF800000
	v_mul_f32_e32 v196, 0x4f7ffffe, v196                       // 0000000034E4: 0B8988FF 4F7FFFFE
	v_cvt_u32_f32_e32 v196, v196                               // 0000000034EC: 7F880FC4
	v_mul_lo_u32 v197, v184, v196                              // 0000000034F0: D28500C5 000389B8
	v_mul_hi_u32 v197, v196, v197                              // 0000000034F8: D28600C5 00038BC4
	v_add_u32_e32 v196, v196, v197                             // 000000003500: 69898BC4
	v_mul_hi_u32 v196, v183, v196                              // 000000003504: D28600C4 000389B7
	v_mul_lo_u32 v197, v196, s53                               // 00000000350C: D28500C5 00006BC4
	v_sub_u32_e32 v199, v183, v197                             // 000000003514: 6B8F8BB7
	v_add_u32_e32 v198, 1, v196                                // 000000003518: 698D8881
	v_cmp_le_u32_e32 vcc, s53, v199                            // 00000000351C: 7D978E35
	v_subrev_u32_e32 v197, s53, v199                           // 000000003520: 6D8B8E35
	s_nop 0                                                    // 000000003524: BF800000
	v_cndmask_b32_e32 v196, v196, v198, vcc                    // 000000003528: 01898DC4
	v_cndmask_b32_e32 v199, v199, v197, vcc                    // 00000000352C: 018F8BC7
	v_add_u32_e32 v197, 1, v196                                // 000000003530: 698B8881
	v_cmp_le_u32_e32 vcc, s53, v199                            // 000000003534: 7D978E35
	s_nop 1                                                    // 000000003538: BF800001
	v_cndmask_b32_e32 v184, v196, v197, vcc                    // 00000000353C: 01718BC4
	v_add_u32_e32 v214, s54, v184                              // 000000003540: 69AD7036
	v_cmp_lt_u32_e32 vcc, s62, v214                            // 000000003544: 7D93AC3E
	v_mov_b32_e32 v197, s62                                    // 000000003548: 7F8A023E
	v_cndmask_b32_e32 v214, v214, v197, vcc                    // 00000000354C: 01AD8BD6
	s_waitcnt vmcnt(18)                                        // 000000003550: BF8C4F72
	v_lshlrev_b32_e32 v20, 16, v4                              // 000000003554: 24280890
	v_and_b32_e32 v21, 0xffff0000, v4                          // 000000003558: 262A08FF FFFF0000
	v_lshlrev_b32_e32 v22, 16, v5                              // 000000003560: 242C0A90
	v_and_b32_e32 v23, 0xffff0000, v5                          // 000000003564: 262E0AFF FFFF0000
	v_lshlrev_b32_e32 v24, 16, v6                              // 00000000356C: 24300C90
	v_and_b32_e32 v25, 0xffff0000, v6                          // 000000003570: 26320CFF FFFF0000
	v_lshlrev_b32_e32 v26, 16, v7                              // 000000003578: 24340E90
	v_and_b32_e32 v27, 0xffff0000, v7                          // 00000000357C: 26360EFF FFFF0000
	v_lshlrev_b32_e32 v28, 16, v8                              // 000000003584: 24381090
	v_and_b32_e32 v29, 0xffff0000, v8                          // 000000003588: 263A10FF FFFF0000
	v_lshlrev_b32_e32 v30, 16, v9                              // 000000003590: 243C1290
	v_and_b32_e32 v31, 0xffff0000, v9                          // 000000003594: 263E12FF FFFF0000
	v_lshlrev_b32_e32 v32, 16, v10                             // 00000000359C: 24401490
	v_and_b32_e32 v33, 0xffff0000, v10                         // 0000000035A0: 264214FF FFFF0000
	v_lshlrev_b32_e32 v34, 16, v11                             // 0000000035A8: 24441690
	v_and_b32_e32 v35, 0xffff0000, v11                         // 0000000035AC: 264616FF FFFF0000
	v_lshlrev_b32_e32 v36, 16, v12                             // 0000000035B4: 24481890
	v_and_b32_e32 v37, 0xffff0000, v12                         // 0000000035B8: 264A18FF FFFF0000
	v_lshlrev_b32_e32 v38, 16, v13                             // 0000000035C0: 244C1A90
	v_and_b32_e32 v39, 0xffff0000, v13                         // 0000000035C4: 264E1AFF FFFF0000
	v_lshlrev_b32_e32 v40, 16, v14                             // 0000000035CC: 24501C90
	v_and_b32_e32 v41, 0xffff0000, v14                         // 0000000035D0: 26521CFF FFFF0000
	v_lshlrev_b32_e32 v42, 16, v15                             // 0000000035D8: 24541E90
	v_and_b32_e32 v43, 0xffff0000, v15                         // 0000000035DC: 26561EFF FFFF0000
	v_lshlrev_b32_e32 v44, 16, v16                             // 0000000035E4: 24582090
	v_and_b32_e32 v45, 0xffff0000, v16                         // 0000000035E8: 265A20FF FFFF0000
	v_lshlrev_b32_e32 v46, 16, v17                             // 0000000035F0: 245C2290
	v_and_b32_e32 v47, 0xffff0000, v17                         // 0000000035F4: 265E22FF FFFF0000
	v_lshlrev_b32_e32 v48, 16, v18                             // 0000000035FC: 24602490
	v_and_b32_e32 v49, 0xffff0000, v18                         // 000000003600: 266224FF FFFF0000
	v_lshlrev_b32_e32 v50, 16, v19                             // 000000003608: 24642690
	v_and_b32_e32 v51, 0xffff0000, v19                         // 00000000360C: 266626FF FFFF0000
	v_mov_b32_e32 v176, 0x358637bd                             // 000000003614: 7F6002FF 358637BD
	v_max3_f32 v176, |v20|, |v21|, v176                        // 00000000361C: D1D303B0 06C22B14
	v_max3_f32 v176, |v22|, |v23|, v176                        // 000000003624: D1D303B0 06C22F16
	v_max3_f32 v176, |v24|, |v25|, v176                        // 00000000362C: D1D303B0 06C23318
	v_max3_f32 v176, |v26|, |v27|, v176                        // 000000003634: D1D303B0 06C2371A
	v_mov_b32_e32 v177, 0x358637bd                             // 00000000363C: 7F6202FF 358637BD
	v_max3_f32 v177, |v28|, |v29|, v177                        // 000000003644: D1D303B1 06C63B1C
	v_max3_f32 v177, |v30|, |v31|, v177                        // 00000000364C: D1D303B1 06C63F1E
	v_max3_f32 v177, |v32|, |v33|, v177                        // 000000003654: D1D303B1 06C64320
	v_max3_f32 v177, |v34|, |v35|, v177                        // 00000000365C: D1D303B1 06C64722
	v_mov_b32_e32 v178, 0x358637bd                             // 000000003664: 7F6402FF 358637BD
	v_max3_f32 v178, |v36|, |v37|, v178                        // 00000000366C: D1D303B2 06CA4B24
	v_max3_f32 v178, |v38|, |v39|, v178                        // 000000003674: D1D303B2 06CA4F26
	v_max3_f32 v178, |v40|, |v41|, v178                        // 00000000367C: D1D303B2 06CA5328
	v_max3_f32 v178, |v42|, |v43|, v178                        // 000000003684: D1D303B2 06CA572A
	v_mov_b32_e32 v179, 0x358637bd                             // 00000000368C: 7F6602FF 358637BD
	v_max3_f32 v179, |v44|, |v45|, v179                        // 000000003694: D1D303B3 06CE5B2C
	v_max3_f32 v179, |v46|, |v47|, v179                        // 00000000369C: D1D303B3 06CE5F2E
	v_max3_f32 v179, |v48|, |v49|, v179                        // 0000000036A4: D1D303B3 06CE6330
	v_max3_f32 v179, |v50|, |v51|, v179                        // 0000000036AC: D1D303B3 06CE6732
	v_max_f32_dpp v176, v176, v176 row_shl:8 row_mask:0xf bank_mask:0xf bound_ctrl:1// 0000000036B4: 176160FA FF0908B0
	v_max_f32_dpp v177, v177, v177 row_shl:8 row_mask:0xf bank_mask:0xf bound_ctrl:1// 0000000036BC: 176362FA FF0908B1
	v_max_f32_dpp v178, v178, v178 row_shl:8 row_mask:0xf bank_mask:0xf bound_ctrl:1// 0000000036C4: 176564FA FF0908B2
	v_max_f32_dpp v179, v179, v179 row_shl:8 row_mask:0xf bank_mask:0xf bound_ctrl:1// 0000000036CC: 176766FA FF0908B3
	v_max_f32_dpp v176, v176, v176 row_shl:4 row_mask:0xf bank_mask:0xf bound_ctrl:1// 0000000036D4: 176160FA FF0904B0
	v_max_f32_dpp v177, v177, v177 row_shl:4 row_mask:0xf bank_mask:0xf bound_ctrl:1// 0000000036DC: 176362FA FF0904B1
	v_max_f32_dpp v178, v178, v178 row_shl:4 row_mask:0xf bank_mask:0xf bound_ctrl:1// 0000000036E4: 176564FA FF0904B2
	v_max_f32_dpp v179, v179, v179 row_shl:4 row_mask:0xf bank_mask:0xf bound_ctrl:1// 0000000036EC: 176766FA FF0904B3
	v_max_f32_dpp v176, v176, v176 row_shl:2 row_mask:0xf bank_mask:0xf bound_ctrl:1// 0000000036F4: 176160FA FF0902B0
	v_max_f32_dpp v177, v177, v177 row_shl:2 row_mask:0xf bank_mask:0xf bound_ctrl:1// 0000000036FC: 176362FA FF0902B1
	v_max_f32_dpp v178, v178, v178 row_shl:2 row_mask:0xf bank_mask:0xf bound_ctrl:1// 000000003704: 176564FA FF0902B2
	v_max_f32_dpp v179, v179, v179 row_shl:2 row_mask:0xf bank_mask:0xf bound_ctrl:1// 00000000370C: 176766FA FF0902B3
	v_max_f32_dpp v176, v176, v176 row_shl:1 row_mask:0xf bank_mask:0xf bound_ctrl:1// 000000003714: 176160FA FF0901B0
	v_max_f32_dpp v177, v177, v177 row_shl:1 row_mask:0xf bank_mask:0xf bound_ctrl:1// 00000000371C: 176362FA FF0901B1
	v_max_f32_dpp v178, v178, v178 row_shl:1 row_mask:0xf bank_mask:0xf bound_ctrl:1// 000000003724: 176564FA FF0901B2
	v_max_f32_dpp v179, v179, v179 row_shl:1 row_mask:0xf bank_mask:0xf bound_ctrl:1// 00000000372C: 176766FA FF0901B3
	ds_write_b128 v241, v[176:179] offset:4096                 // 000000003734: D9BE1000 0000B0F1
	s_waitcnt lgkmcnt(0)                                       // 00000000373C: BF8CC07F
	s_barrier                                                  // 000000003740: BF8A0000
	ds_read_b128 v[176:179], v243 offset:4096                  // 000000003744: D9FE1000 B00000F3
	s_waitcnt lgkmcnt(0)                                       // 00000000374C: BF8CC07F
	v_rcp_f32_e32 v176, v176                                   // 000000003750: 7F6045B0
	v_rcp_f32_e32 v177, v177                                   // 000000003754: 7F6245B1
	v_rcp_f32_e32 v178, v178                                   // 000000003758: 7F6445B2
	v_rcp_f32_e32 v179, v179                                   // 00000000375C: 7F6645B3
	v_mul_f32_e32 v176, 0x43700000, v176                       // 000000003760: 0B6160FF 43700000
	v_mul_f32_e32 v177, 0x43700000, v177                       // 000000003768: 0B6362FF 43700000
	v_mul_f32_e32 v178, 0x43700000, v178                       // 000000003770: 0B6564FF 43700000
	v_mul_f32_e32 v179, 0x43700000, v179                       // 000000003778: 0B6766FF 43700000
	s_lshl_b32 s54, s57, 2                                     // 000000003780: 8E368239
	v_lshrrev_b32_e32 v199, 4, v0                              // 000000003784: 218E0084
	v_add_u32_e32 v199, s54, v199                              // 000000003788: 698F8E36
	v_lshlrev_b32_e32 v199, 2, v199                            // 00000000378C: 258F8E82
	ds_bpermute_b32 v196, v199, v176                           // 000000003790: D87E0000 C400B0C7
	ds_bpermute_b32 v197, v199, v177                           // 000000003798: D87E0000 C500B1C7
	ds_bpermute_b32 v198, v199, v178                           // 0000000037A0: D87E0000 C600B2C7
	ds_bpermute_b32 v199, v199, v179                           // 0000000037A8: D87E0000 C700B3C7
	v_rcp_f32_e32 v132, v176                                   // 0000000037B0: 7F0845B0
	v_rcp_f32_e32 v134, v177                                   // 0000000037B4: 7F0C45B1
	v_rcp_f32_e32 v136, v178                                   // 0000000037B8: 7F1045B2
	v_rcp_f32_e32 v138, v179                                   // 0000000037BC: 7F1445B3
	v_mov_b32_e32 v133, v132                                   // 0000000037C0: 7F0A0384
	v_mov_b32_e32 v135, v134                                   // 0000000037C4: 7F0E0386
	v_mov_b32_e32 v137, v136                                   // 0000000037C8: 7F120388
	v_mov_b32_e32 v139, v138                                   // 0000000037CC: 7F16038A
	s_waitcnt lgkmcnt(0)                                       // 0000000037D0: BF8CC07F
	v_mul_f32_e32 v20, v20, v196                               // 0000000037D4: 0A298914
	v_mul_f32_e32 v21, v21, v196                               // 0000000037D8: 0A2B8915
	v_mul_f32_e32 v22, v22, v196                               // 0000000037DC: 0A2D8916
	v_mul_f32_e32 v23, v23, v196                               // 0000000037E0: 0A2F8917
	v_mul_f32_e32 v24, v24, v196                               // 0000000037E4: 0A318918
	v_mul_f32_e32 v25, v25, v196                               // 0000000037E8: 0A338919
	v_mul_f32_e32 v26, v26, v196                               // 0000000037EC: 0A35891A
	v_mul_f32_e32 v27, v27, v196                               // 0000000037F0: 0A37891B
	v_mul_f32_e32 v28, v28, v197                               // 0000000037F4: 0A398B1C
	v_mul_f32_e32 v29, v29, v197                               // 0000000037F8: 0A3B8B1D
	v_mul_f32_e32 v30, v30, v197                               // 0000000037FC: 0A3D8B1E
	v_mul_f32_e32 v31, v31, v197                               // 000000003800: 0A3F8B1F
	v_mul_f32_e32 v32, v32, v197                               // 000000003804: 0A418B20
	v_mul_f32_e32 v33, v33, v197                               // 000000003808: 0A438B21
	v_mul_f32_e32 v34, v34, v197                               // 00000000380C: 0A458B22
	v_mul_f32_e32 v35, v35, v197                               // 000000003810: 0A478B23
	v_mul_f32_e32 v36, v36, v198                               // 000000003814: 0A498D24
	v_mul_f32_e32 v37, v37, v198                               // 000000003818: 0A4B8D25
	v_mul_f32_e32 v38, v38, v198                               // 00000000381C: 0A4D8D26
	v_mul_f32_e32 v39, v39, v198                               // 000000003820: 0A4F8D27
	v_mul_f32_e32 v40, v40, v198                               // 000000003824: 0A518D28
	v_mul_f32_e32 v41, v41, v198                               // 000000003828: 0A538D29
	v_mul_f32_e32 v42, v42, v198                               // 00000000382C: 0A558D2A
	v_mul_f32_e32 v43, v43, v198                               // 000000003830: 0A578D2B
	v_mul_f32_e32 v44, v44, v199                               // 000000003834: 0A598F2C
	v_mul_f32_e32 v45, v45, v199                               // 000000003838: 0A5B8F2D
	v_mul_f32_e32 v46, v46, v199                               // 00000000383C: 0A5D8F2E
	v_mul_f32_e32 v47, v47, v199                               // 000000003840: 0A5F8F2F
	v_mul_f32_e32 v48, v48, v199                               // 000000003844: 0A618F30
	v_mul_f32_e32 v49, v49, v199                               // 000000003848: 0A638F31
	v_mul_f32_e32 v50, v50, v199                               // 00000000384C: 0A658F32
	v_mul_f32_e32 v51, v51, v199                               // 000000003850: 0A678F33
	v_cvt_pk_fp8_f32 v20, v20, v21                             // 000000003854: D2A20014 00022B14
	v_cvt_pk_fp8_f32 v20, v22, v23 op_sel:[0,0,1]              // 00000000385C: D2A24014 00022F16
	v_cvt_pk_fp8_f32 v21, v24, v25                             // 000000003864: D2A20015 00023318
	v_cvt_pk_fp8_f32 v21, v26, v27 op_sel:[0,0,1]              // 00000000386C: D2A24015 0002371A
	v_cvt_pk_fp8_f32 v22, v28, v29                             // 000000003874: D2A20016 00023B1C
	v_cvt_pk_fp8_f32 v22, v30, v31 op_sel:[0,0,1]              // 00000000387C: D2A24016 00023F1E
	v_cvt_pk_fp8_f32 v23, v32, v33                             // 000000003884: D2A20017 00024320
	v_cvt_pk_fp8_f32 v23, v34, v35 op_sel:[0,0,1]              // 00000000388C: D2A24017 00024722
	v_cvt_pk_fp8_f32 v24, v36, v37                             // 000000003894: D2A20018 00024B24
	v_cvt_pk_fp8_f32 v24, v38, v39 op_sel:[0,0,1]              // 00000000389C: D2A24018 00024F26
	v_cvt_pk_fp8_f32 v25, v40, v41                             // 0000000038A4: D2A20019 00025328
	v_cvt_pk_fp8_f32 v25, v42, v43 op_sel:[0,0,1]              // 0000000038AC: D2A24019 0002572A
	v_cvt_pk_fp8_f32 v26, v44, v45                             // 0000000038B4: D2A2001A 00025B2C
	v_cvt_pk_fp8_f32 v26, v46, v47 op_sel:[0,0,1]              // 0000000038BC: D2A2401A 00025F2E
	v_cvt_pk_fp8_f32 v27, v48, v49                             // 0000000038C4: D2A2001B 00026330
	v_cvt_pk_fp8_f32 v27, v50, v51 op_sel:[0,0,1]              // 0000000038CC: D2A2401B 00026732
	ds_write_b64 v242, v[20:21] offset:8192                    // 0000000038D4: D89A2000 000014F2
	ds_write_b64 v242, v[22:23] offset:10496                   // 0000000038DC: D89A2900 000016F2
	ds_write_b64 v242, v[24:25] offset:12800                   // 0000000038E4: D89A3200 000018F2
	ds_write_b64 v242, v[26:27] offset:15104                   // 0000000038EC: D89A3B00 00001AF2
	s_waitcnt lgkmcnt(0)                                       // 0000000038F4: BF8CC07F
	s_barrier                                                  // 0000000038F8: BF8A0000
	ds_read_b128 a[0:3], v244 offset:8192                      // 0000000038FC: DBFE2000 000000F4
	ds_read_b128 a[4:7], v244 offset:8256                      // 000000003904: DBFE2040 040000F4
	ds_read_b128 a[8:11], v244 offset:10496                    // 00000000390C: DBFE2900 080000F4
	ds_read_b128 a[12:15], v244 offset:10560                   // 000000003914: DBFE2940 0C0000F4
	ds_read_b128 a[16:19], v244 offset:12800                   // 00000000391C: DBFE3200 100000F4
	ds_read_b128 a[20:23], v244 offset:12864                   // 000000003924: DBFE3240 140000F4
	ds_read_b128 a[24:27], v244 offset:15104                   // 00000000392C: DBFE3B00 180000F4
	ds_read_b128 a[28:31], v244 offset:15168                   // 000000003934: DBFE3B40 1C0000F4
	s_waitcnt lgkmcnt(0)                                       // 00000000393C: BF8CC07F
	s_cmp_lt_i32 s57, 2                                        // 000000003940: BF048239
	s_cbranch_scc0 label_1A5C                                  // 000000003944: BF84158A

0000000000003948 <label_04D2>:
	s_cmp_lt_i32 s64, s63                                      // 000000003948: BF043F40
	s_cbranch_scc0 label_2FE6                                  // 00000000394C: BF842B12
	s_waitcnt vmcnt(10)                                        // 000000003950: BF8C0F7A
	v_mfma_f32_16x16x32_fp8_fp8 v[4:7], a[32:33], a[0:1], 0    // 000000003954: D3F30004 1A020120
	s_add_u32 s12, s86, s69                                    // 00000000395C: 800C4556
	s_addc_u32 s13, s87, 0                                     // 000000003960: 820D8057
	v_mfma_f32_16x16x32_fp8_fp8 v[4:7], a[34:35], a[2:3], v[4:7]// 000000003964: D3F30004 1C120522
	s_add_u32 s16, s88, s70                                    // 00000000396C: 80104658
	s_addc_u32 s17, s89, 0                                     // 000000003970: 82118059
	v_mfma_f32_16x16x32_fp8_fp8 v[4:7], a[36:37], a[4:5], v[4:7]// 000000003974: D3F30004 1C120924
	buffer_load_dwordx4 a[64:67], v225, s[12:15], 0 offen      // 00000000397C: E05C1000 808340E1
	v_mfma_f32_16x16x32_fp8_fp8 v[4:7], a[38:39], a[6:7], v[4:7]// 000000003984: D3F30004 1C120D26
	s_add_u32 s20, s90, s71                                    // 00000000398C: 8014475A
	s_addc_u32 s21, s91, 0                                     // 000000003990: 8215805B
	v_mfma_f32_16x16x32_fp8_fp8 v[8:11], a[40:41], a[0:1], 0   // 000000003994: D3F30008 1A020128
	s_add_u32 s24, s92, s71                                    // 00000000399C: 8018475C
	s_addc_u32 s25, s93, 0                                     // 0000000039A0: 8219805D
	v_mfma_f32_16x16x32_fp8_fp8 v[8:11], a[42:43], a[2:3], v[8:11]// 0000000039A4: D3F30008 1C22052A
	s_add_u32 s69, s69, 0x1000                                 // 0000000039AC: 8045FF45 00001000
	s_add_u32 s70, s70, 0x8000                                 // 0000000039B4: 8046FF46 00008000
	v_mfma_f32_16x16x32_fp8_fp8 v[8:11], a[44:45], a[4:5], v[8:11]// 0000000039BC: D3F30008 1C22092C
	buffer_load_dwordx4 a[68:71], v226, s[12:15], 0 offen      // 0000000039C4: E05C1000 808344E2
	v_mfma_f32_16x16x32_fp8_fp8 v[8:11], a[46:47], a[6:7], v[8:11]// 0000000039CC: D3F30008 1C220D2E
	v_mfma_f32_16x16x32_fp8_fp8 v[12:15], a[48:49], a[0:1], 0  // 0000000039D4: D3F3000C 1A020130
	v_mfma_f32_16x16x32_fp8_fp8 v[12:15], a[50:51], a[2:3], v[12:15]// 0000000039DC: D3F3000C 1C320532
	v_mfma_f32_16x16x32_fp8_fp8 v[12:15], a[52:53], a[4:5], v[12:15]// 0000000039E4: D3F3000C 1C320934
	buffer_load_dwordx4 a[72:75], v225, s[12:15], 0 offen offset:1024// 0000000039EC: E05C1400 808348E1
	v_mfma_f32_16x16x32_fp8_fp8 v[12:15], a[54:55], a[6:7], v[12:15]// 0000000039F4: D3F3000C 1C320D36
	v_mfma_f32_16x16x32_fp8_fp8 v[16:19], a[56:57], a[0:1], 0  // 0000000039FC: D3F30010 1A020138
	v_mfma_f32_16x16x32_fp8_fp8 v[16:19], a[58:59], a[2:3], v[16:19]// 000000003A04: D3F30010 1C42053A
	v_mfma_f32_16x16x32_fp8_fp8 v[16:19], a[60:61], a[4:5], v[16:19]// 000000003A0C: D3F30010 1C42093C
	buffer_load_dwordx4 a[76:79], v226, s[12:15], 0 offen offset:1024// 000000003A14: E05C1400 80834CE2
	v_mfma_f32_16x16x32_fp8_fp8 v[16:19], a[62:63], a[6:7], v[16:19]// 000000003A1C: D3F30010 1C420D3E
	v_mfma_f32_16x16x32_fp8_fp8 v[20:23], a[32:33], a[8:9], 0  // 000000003A24: D3F30014 1A021120
	v_mfma_f32_16x16x32_fp8_fp8 v[20:23], a[34:35], a[10:11], v[20:23]// 000000003A2C: D3F30014 1C521522
	v_mfma_f32_16x16x32_fp8_fp8 v[20:23], a[36:37], a[12:13], v[20:23]// 000000003A34: D3F30014 1C521924
	buffer_load_dwordx4 a[80:83], v225, s[12:15], 0 offen offset:2048// 000000003A3C: E05C1800 808350E1
	v_mfma_f32_16x16x32_fp8_fp8 v[20:23], a[38:39], a[14:15], v[20:23]// 000000003A44: D3F30014 1C521D26
	v_mfma_f32_16x16x32_fp8_fp8 v[24:27], a[40:41], a[8:9], 0  // 000000003A4C: D3F30018 1A021128
	v_mfma_f32_16x16x32_fp8_fp8 v[24:27], a[42:43], a[10:11], v[24:27]// 000000003A54: D3F30018 1C62152A
	v_mfma_f32_16x16x32_fp8_fp8 v[24:27], a[44:45], a[12:13], v[24:27]// 000000003A5C: D3F30018 1C62192C
	buffer_load_dwordx4 a[84:87], v226, s[12:15], 0 offen offset:2048// 000000003A64: E05C1800 808354E2
	v_mfma_f32_16x16x32_fp8_fp8 v[24:27], a[46:47], a[14:15], v[24:27]// 000000003A6C: D3F30018 1C621D2E
	v_mfma_f32_16x16x32_fp8_fp8 v[28:31], a[48:49], a[8:9], 0  // 000000003A74: D3F3001C 1A021130
	v_mfma_f32_16x16x32_fp8_fp8 v[28:31], a[50:51], a[10:11], v[28:31]// 000000003A7C: D3F3001C 1C721532
	v_mfma_f32_16x16x32_fp8_fp8 v[28:31], a[52:53], a[12:13], v[28:31]// 000000003A84: D3F3001C 1C721934
	buffer_load_dwordx4 a[88:91], v225, s[12:15], 0 offen offset:3072// 000000003A8C: E05C1C00 808358E1
	v_mfma_f32_16x16x32_fp8_fp8 v[28:31], a[54:55], a[14:15], v[28:31]// 000000003A94: D3F3001C 1C721D36
	v_mfma_f32_16x16x32_fp8_fp8 v[32:35], a[56:57], a[8:9], 0  // 000000003A9C: D3F30020 1A021138
	v_mfma_f32_16x16x32_fp8_fp8 v[32:35], a[58:59], a[10:11], v[32:35]// 000000003AA4: D3F30020 1C82153A
	v_mfma_f32_16x16x32_fp8_fp8 v[32:35], a[60:61], a[12:13], v[32:35]// 000000003AAC: D3F30020 1C82193C
	buffer_load_dwordx4 a[92:95], v226, s[12:15], 0 offen offset:3072// 000000003AB4: E05C1C00 80835CE2
	v_mfma_f32_16x16x32_fp8_fp8 v[32:35], a[62:63], a[14:15], v[32:35]// 000000003ABC: D3F30020 1C821D3E
	v_mfma_f32_16x16x32_fp8_fp8 v[36:39], a[32:33], a[16:17], 0// 000000003AC4: D3F30024 1A022120
	v_mfma_f32_16x16x32_fp8_fp8 v[36:39], a[34:35], a[18:19], v[36:39]// 000000003ACC: D3F30024 1C922522
	v_mfma_f32_16x16x32_fp8_fp8 v[36:39], a[36:37], a[20:21], v[36:39]// 000000003AD4: D3F30024 1C922924
	v_mfma_f32_16x16x32_fp8_fp8 v[36:39], a[38:39], a[22:23], v[36:39]// 000000003ADC: D3F30024 1C922D26
	v_mfma_f32_16x16x32_fp8_fp8 v[40:43], a[40:41], a[16:17], 0// 000000003AE4: D3F30028 1A022128
	v_mfma_f32_16x16x32_fp8_fp8 v[40:43], a[42:43], a[18:19], v[40:43]// 000000003AEC: D3F30028 1CA2252A
	v_mfma_f32_16x16x32_fp8_fp8 v[40:43], a[44:45], a[20:21], v[40:43]// 000000003AF4: D3F30028 1CA2292C
	v_mfma_f32_16x16x32_fp8_fp8 v[40:43], a[46:47], a[22:23], v[40:43]// 000000003AFC: D3F30028 1CA22D2E
	v_mfma_f32_16x16x32_fp8_fp8 v[44:47], a[48:49], a[16:17], 0// 000000003B04: D3F3002C 1A022130
	v_mfma_f32_16x16x32_fp8_fp8 v[44:47], a[50:51], a[18:19], v[44:47]// 000000003B0C: D3F3002C 1CB22532
	v_mfma_f32_16x16x32_fp8_fp8 v[44:47], a[52:53], a[20:21], v[44:47]// 000000003B14: D3F3002C 1CB22934
	v_mfma_f32_16x16x32_fp8_fp8 v[44:47], a[54:55], a[22:23], v[44:47]// 000000003B1C: D3F3002C 1CB22D36
	v_mfma_f32_16x16x32_fp8_fp8 v[48:51], a[56:57], a[16:17], 0// 000000003B24: D3F30030 1A022138
	v_mfma_f32_16x16x32_fp8_fp8 v[48:51], a[58:59], a[18:19], v[48:51]// 000000003B2C: D3F30030 1CC2253A
	v_mfma_f32_16x16x32_fp8_fp8 v[48:51], a[60:61], a[20:21], v[48:51]// 000000003B34: D3F30030 1CC2293C
	v_mfma_f32_16x16x32_fp8_fp8 v[48:51], a[62:63], a[22:23], v[48:51]// 000000003B3C: D3F30030 1CC22D3E
	v_mfma_f32_16x16x32_fp8_fp8 v[52:55], a[32:33], a[24:25], 0// 000000003B44: D3F30034 1A023120
	v_mfma_f32_16x16x32_fp8_fp8 v[52:55], a[34:35], a[26:27], v[52:55]// 000000003B4C: D3F30034 1CD23522
	v_mfma_f32_16x16x32_fp8_fp8 v[52:55], a[36:37], a[28:29], v[52:55]// 000000003B54: D3F30034 1CD23924
	v_mfma_f32_16x16x32_fp8_fp8 v[52:55], a[38:39], a[30:31], v[52:55]// 000000003B5C: D3F30034 1CD23D26
	v_mfma_f32_16x16x32_fp8_fp8 v[56:59], a[40:41], a[24:25], 0// 000000003B64: D3F30038 1A023128
	v_mfma_f32_16x16x32_fp8_fp8 v[56:59], a[42:43], a[26:27], v[56:59]// 000000003B6C: D3F30038 1CE2352A
	v_mfma_f32_16x16x32_fp8_fp8 v[56:59], a[44:45], a[28:29], v[56:59]// 000000003B74: D3F30038 1CE2392C
	v_mfma_f32_16x16x32_fp8_fp8 v[56:59], a[46:47], a[30:31], v[56:59]// 000000003B7C: D3F30038 1CE23D2E
	v_mfma_f32_16x16x32_fp8_fp8 v[60:63], a[48:49], a[24:25], 0// 000000003B84: D3F3003C 1A023130
	v_mfma_f32_16x16x32_fp8_fp8 v[60:63], a[50:51], a[26:27], v[60:63]// 000000003B8C: D3F3003C 1CF23532
	v_mfma_f32_16x16x32_fp8_fp8 v[60:63], a[52:53], a[28:29], v[60:63]// 000000003B94: D3F3003C 1CF23934
	v_mfma_f32_16x16x32_fp8_fp8 v[60:63], a[54:55], a[30:31], v[60:63]// 000000003B9C: D3F3003C 1CF23D36
	v_mfma_f32_16x16x32_fp8_fp8 v[64:67], a[56:57], a[24:25], 0// 000000003BA4: D3F30040 1A023138
	v_mfma_f32_16x16x32_fp8_fp8 v[64:67], a[58:59], a[26:27], v[64:67]// 000000003BAC: D3F30040 1D02353A
	v_mfma_f32_16x16x32_fp8_fp8 v[64:67], a[60:61], a[28:29], v[64:67]// 000000003BB4: D3F30040 1D02393C
	v_mfma_f32_16x16x32_fp8_fp8 v[64:67], a[62:63], a[30:31], v[64:67]// 000000003BBC: D3F30040 1D023D3E
	s_waitcnt vmcnt(16)                                        // 000000003BC4: BF8C4F70
	v_pk_mul_f32 v[4:5], v[132:133], v[4:5]                    // 000000003BC8: D3B14004 18020984
	v_pk_mul_f32 v[6:7], v[132:133], v[6:7]                    // 000000003BD0: D3B14006 18020D84
	v_mul_f32_dpp v4, v140, v4 row_newbcast:0 row_mask:0xf bank_mask:0xf// 000000003BD8: 0A0808FA FF01508C
	v_mul_f32_dpp v5, v140, v5 row_newbcast:1 row_mask:0xf bank_mask:0xf// 000000003BE0: 0A0A0AFA FF01518C
	v_mul_f32_dpp v6, v140, v6 row_newbcast:2 row_mask:0xf bank_mask:0xf// 000000003BE8: 0A0C0CFA FF01528C
	v_mul_f32_dpp v7, v140, v7 row_newbcast:3 row_mask:0xf bank_mask:0xf// 000000003BF0: 0A0E0EFA FF01538C
	v_pk_mul_f32 v[8:9], v[132:133], v[8:9]                    // 000000003BF8: D3B14008 18021184
	v_pk_mul_f32 v[10:11], v[132:133], v[10:11]                // 000000003C00: D3B1400A 18021584
	v_mul_f32_dpp v8, v140, v8 row_newbcast:4 row_mask:0xf bank_mask:0xf// 000000003C08: 0A1010FA FF01548C
	v_mul_f32_dpp v9, v140, v9 row_newbcast:5 row_mask:0xf bank_mask:0xf// 000000003C10: 0A1212FA FF01558C
	v_mul_f32_dpp v10, v140, v10 row_newbcast:6 row_mask:0xf bank_mask:0xf// 000000003C18: 0A1414FA FF01568C
	v_mul_f32_dpp v11, v140, v11 row_newbcast:7 row_mask:0xf bank_mask:0xf// 000000003C20: 0A1616FA FF01578C
	v_pk_mul_f32 v[12:13], v[132:133], v[12:13]                // 000000003C28: D3B1400C 18021984
	v_pk_mul_f32 v[14:15], v[132:133], v[14:15]                // 000000003C30: D3B1400E 18021D84
	v_mul_f32_dpp v12, v140, v12 row_newbcast:8 row_mask:0xf bank_mask:0xf// 000000003C38: 0A1818FA FF01588C
	v_mul_f32_dpp v13, v140, v13 row_newbcast:9 row_mask:0xf bank_mask:0xf// 000000003C40: 0A1A1AFA FF01598C
	v_mul_f32_dpp v14, v140, v14 row_newbcast:10 row_mask:0xf bank_mask:0xf// 000000003C48: 0A1C1CFA FF015A8C
	v_mul_f32_dpp v15, v140, v15 row_newbcast:11 row_mask:0xf bank_mask:0xf// 000000003C50: 0A1E1EFA FF015B8C
	v_pk_mul_f32 v[16:17], v[132:133], v[16:17]                // 000000003C58: D3B14010 18022184
	v_pk_mul_f32 v[18:19], v[132:133], v[18:19]                // 000000003C60: D3B14012 18022584
	v_mul_f32_dpp v16, v140, v16 row_newbcast:12 row_mask:0xf bank_mask:0xf// 000000003C68: 0A2020FA FF015C8C
	v_mul_f32_dpp v17, v140, v17 row_newbcast:13 row_mask:0xf bank_mask:0xf// 000000003C70: 0A2222FA FF015D8C
	v_mul_f32_dpp v18, v140, v18 row_newbcast:14 row_mask:0xf bank_mask:0xf// 000000003C78: 0A2424FA FF015E8C
	v_mul_f32_dpp v19, v140, v19 row_newbcast:15 row_mask:0xf bank_mask:0xf// 000000003C80: 0A2626FA FF015F8C
	v_pk_mul_f32 v[20:21], v[134:135], v[20:21]                // 000000003C88: D3B14014 18022986
	v_pk_mul_f32 v[22:23], v[134:135], v[22:23]                // 000000003C90: D3B14016 18022D86
	v_mul_f32_dpp v20, v140, v20 row_newbcast:0 row_mask:0xf bank_mask:0xf// 000000003C98: 0A2828FA FF01508C
	v_mul_f32_dpp v21, v140, v21 row_newbcast:1 row_mask:0xf bank_mask:0xf// 000000003CA0: 0A2A2AFA FF01518C
	v_mul_f32_dpp v22, v140, v22 row_newbcast:2 row_mask:0xf bank_mask:0xf// 000000003CA8: 0A2C2CFA FF01528C
	v_mul_f32_dpp v23, v140, v23 row_newbcast:3 row_mask:0xf bank_mask:0xf// 000000003CB0: 0A2E2EFA FF01538C
	v_pk_mul_f32 v[24:25], v[134:135], v[24:25]                // 000000003CB8: D3B14018 18023186
	v_pk_mul_f32 v[26:27], v[134:135], v[26:27]                // 000000003CC0: D3B1401A 18023586
	v_mul_f32_dpp v24, v140, v24 row_newbcast:4 row_mask:0xf bank_mask:0xf// 000000003CC8: 0A3030FA FF01548C
	v_mul_f32_dpp v25, v140, v25 row_newbcast:5 row_mask:0xf bank_mask:0xf// 000000003CD0: 0A3232FA FF01558C
	v_mul_f32_dpp v26, v140, v26 row_newbcast:6 row_mask:0xf bank_mask:0xf// 000000003CD8: 0A3434FA FF01568C
	v_mul_f32_dpp v27, v140, v27 row_newbcast:7 row_mask:0xf bank_mask:0xf// 000000003CE0: 0A3636FA FF01578C
	v_pk_mul_f32 v[28:29], v[134:135], v[28:29]                // 000000003CE8: D3B1401C 18023986
	v_pk_mul_f32 v[30:31], v[134:135], v[30:31]                // 000000003CF0: D3B1401E 18023D86
	v_mul_f32_dpp v28, v140, v28 row_newbcast:8 row_mask:0xf bank_mask:0xf// 000000003CF8: 0A3838FA FF01588C
	v_mul_f32_dpp v29, v140, v29 row_newbcast:9 row_mask:0xf bank_mask:0xf// 000000003D00: 0A3A3AFA FF01598C
	v_mul_f32_dpp v30, v140, v30 row_newbcast:10 row_mask:0xf bank_mask:0xf// 000000003D08: 0A3C3CFA FF015A8C
	v_mul_f32_dpp v31, v140, v31 row_newbcast:11 row_mask:0xf bank_mask:0xf// 000000003D10: 0A3E3EFA FF015B8C
	v_pk_mul_f32 v[32:33], v[134:135], v[32:33]                // 000000003D18: D3B14020 18024186
	v_pk_mul_f32 v[34:35], v[134:135], v[34:35]                // 000000003D20: D3B14022 18024586
	v_mul_f32_dpp v32, v140, v32 row_newbcast:12 row_mask:0xf bank_mask:0xf// 000000003D28: 0A4040FA FF015C8C
	v_mul_f32_dpp v33, v140, v33 row_newbcast:13 row_mask:0xf bank_mask:0xf// 000000003D30: 0A4242FA FF015D8C
	v_mul_f32_dpp v34, v140, v34 row_newbcast:14 row_mask:0xf bank_mask:0xf// 000000003D38: 0A4444FA FF015E8C
	v_mul_f32_dpp v35, v140, v35 row_newbcast:15 row_mask:0xf bank_mask:0xf// 000000003D40: 0A4646FA FF015F8C
	v_pk_mul_f32 v[36:37], v[136:137], v[36:37]                // 000000003D48: D3B14024 18024988
	v_pk_mul_f32 v[38:39], v[136:137], v[38:39]                // 000000003D50: D3B14026 18024D88
	v_mul_f32_dpp v36, v140, v36 row_newbcast:0 row_mask:0xf bank_mask:0xf// 000000003D58: 0A4848FA FF01508C
	v_mul_f32_dpp v37, v140, v37 row_newbcast:1 row_mask:0xf bank_mask:0xf// 000000003D60: 0A4A4AFA FF01518C
	v_mul_f32_dpp v38, v140, v38 row_newbcast:2 row_mask:0xf bank_mask:0xf// 000000003D68: 0A4C4CFA FF01528C
	v_mul_f32_dpp v39, v140, v39 row_newbcast:3 row_mask:0xf bank_mask:0xf// 000000003D70: 0A4E4EFA FF01538C
	v_pk_mul_f32 v[40:41], v[136:137], v[40:41]                // 000000003D78: D3B14028 18025188
	v_pk_mul_f32 v[42:43], v[136:137], v[42:43]                // 000000003D80: D3B1402A 18025588
	v_mul_f32_dpp v40, v140, v40 row_newbcast:4 row_mask:0xf bank_mask:0xf// 000000003D88: 0A5050FA FF01548C
	v_mul_f32_dpp v41, v140, v41 row_newbcast:5 row_mask:0xf bank_mask:0xf// 000000003D90: 0A5252FA FF01558C
	v_mul_f32_dpp v42, v140, v42 row_newbcast:6 row_mask:0xf bank_mask:0xf// 000000003D98: 0A5454FA FF01568C
	v_mul_f32_dpp v43, v140, v43 row_newbcast:7 row_mask:0xf bank_mask:0xf// 000000003DA0: 0A5656FA FF01578C
	v_pk_mul_f32 v[44:45], v[136:137], v[44:45]                // 000000003DA8: D3B1402C 18025988
	v_pk_mul_f32 v[46:47], v[136:137], v[46:47]                // 000000003DB0: D3B1402E 18025D88
	v_mul_f32_dpp v44, v140, v44 row_newbcast:8 row_mask:0xf bank_mask:0xf// 000000003DB8: 0A5858FA FF01588C
	v_mul_f32_dpp v45, v140, v45 row_newbcast:9 row_mask:0xf bank_mask:0xf// 000000003DC0: 0A5A5AFA FF01598C
	v_mul_f32_dpp v46, v140, v46 row_newbcast:10 row_mask:0xf bank_mask:0xf// 000000003DC8: 0A5C5CFA FF015A8C
	v_mul_f32_dpp v47, v140, v47 row_newbcast:11 row_mask:0xf bank_mask:0xf// 000000003DD0: 0A5E5EFA FF015B8C
	v_pk_mul_f32 v[48:49], v[136:137], v[48:49]                // 000000003DD8: D3B14030 18026188
	v_pk_mul_f32 v[50:51], v[136:137], v[50:51]                // 000000003DE0: D3B14032 18026588
	v_mul_f32_dpp v48, v140, v48 row_newbcast:12 row_mask:0xf bank_mask:0xf// 000000003DE8: 0A6060FA FF015C8C
	v_mul_f32_dpp v49, v140, v49 row_newbcast:13 row_mask:0xf bank_mask:0xf// 000000003DF0: 0A6262FA FF015D8C
	v_mul_f32_dpp v50, v140, v50 row_newbcast:14 row_mask:0xf bank_mask:0xf// 000000003DF8: 0A6464FA FF015E8C
	v_mul_f32_dpp v51, v140, v51 row_newbcast:15 row_mask:0xf bank_mask:0xf// 000000003E00: 0A6666FA FF015F8C
	v_pk_mul_f32 v[52:53], v[138:139], v[52:53]                // 000000003E08: D3B14034 1802698A
	v_pk_mul_f32 v[54:55], v[138:139], v[54:55]                // 000000003E10: D3B14036 18026D8A
	v_mul_f32_dpp v52, v140, v52 row_newbcast:0 row_mask:0xf bank_mask:0xf// 000000003E18: 0A6868FA FF01508C
	v_mul_f32_dpp v53, v140, v53 row_newbcast:1 row_mask:0xf bank_mask:0xf// 000000003E20: 0A6A6AFA FF01518C
	v_mul_f32_dpp v54, v140, v54 row_newbcast:2 row_mask:0xf bank_mask:0xf// 000000003E28: 0A6C6CFA FF01528C
	v_mul_f32_dpp v55, v140, v55 row_newbcast:3 row_mask:0xf bank_mask:0xf// 000000003E30: 0A6E6EFA FF01538C
	v_pk_mul_f32 v[56:57], v[138:139], v[56:57]                // 000000003E38: D3B14038 1802718A
	v_pk_mul_f32 v[58:59], v[138:139], v[58:59]                // 000000003E40: D3B1403A 1802758A
	v_mul_f32_dpp v56, v140, v56 row_newbcast:4 row_mask:0xf bank_mask:0xf// 000000003E48: 0A7070FA FF01548C
	v_mul_f32_dpp v57, v140, v57 row_newbcast:5 row_mask:0xf bank_mask:0xf// 000000003E50: 0A7272FA FF01558C
	v_mul_f32_dpp v58, v140, v58 row_newbcast:6 row_mask:0xf bank_mask:0xf// 000000003E58: 0A7474FA FF01568C
	v_mul_f32_dpp v59, v140, v59 row_newbcast:7 row_mask:0xf bank_mask:0xf// 000000003E60: 0A7676FA FF01578C
	v_pk_mul_f32 v[60:61], v[138:139], v[60:61]                // 000000003E68: D3B1403C 1802798A
	v_pk_mul_f32 v[62:63], v[138:139], v[62:63]                // 000000003E70: D3B1403E 18027D8A
	v_mul_f32_dpp v60, v140, v60 row_newbcast:8 row_mask:0xf bank_mask:0xf// 000000003E78: 0A7878FA FF01588C
	v_mul_f32_dpp v61, v140, v61 row_newbcast:9 row_mask:0xf bank_mask:0xf// 000000003E80: 0A7A7AFA FF01598C
	v_mul_f32_dpp v62, v140, v62 row_newbcast:10 row_mask:0xf bank_mask:0xf// 000000003E88: 0A7C7CFA FF015A8C
	v_mul_f32_dpp v63, v140, v63 row_newbcast:11 row_mask:0xf bank_mask:0xf// 000000003E90: 0A7E7EFA FF015B8C
	v_pk_mul_f32 v[64:65], v[138:139], v[64:65]                // 000000003E98: D3B14040 1802818A
	v_pk_mul_f32 v[66:67], v[138:139], v[66:67]                // 000000003EA0: D3B14042 1802858A
	v_mul_f32_dpp v64, v140, v64 row_newbcast:12 row_mask:0xf bank_mask:0xf// 000000003EA8: 0A8080FA FF015C8C
	v_mul_f32_dpp v65, v140, v65 row_newbcast:13 row_mask:0xf bank_mask:0xf// 000000003EB0: 0A8282FA FF015D8C
	v_mul_f32_dpp v66, v140, v66 row_newbcast:14 row_mask:0xf bank_mask:0xf// 000000003EB8: 0A8484FA FF015E8C
	v_mul_f32_dpp v67, v140, v67 row_newbcast:15 row_mask:0xf bank_mask:0xf// 000000003EC0: 0A8686FA FF015F8C
	v_mov_b32_e32 v176, v4                                     // 000000003EC8: 7F600304
	v_max3_f32 v176, v4, v5, v176                              // 000000003ECC: D1D300B0 06C20B04
	v_max3_f32 v176, v6, v7, v176                              // 000000003ED4: D1D300B0 06C20F06
	v_max3_f32 v176, v8, v9, v176                              // 000000003EDC: D1D300B0 06C21308
	v_max3_f32 v176, v10, v11, v176                            // 000000003EE4: D1D300B0 06C2170A
	v_max3_f32 v176, v12, v13, v176                            // 000000003EEC: D1D300B0 06C21B0C
	v_max3_f32 v176, v14, v15, v176                            // 000000003EF4: D1D300B0 06C21F0E
	v_max3_f32 v176, v16, v17, v176                            // 000000003EFC: D1D300B0 06C22310
	v_max3_f32 v176, v18, v19, v176                            // 000000003F04: D1D300B0 06C22712
	v_mov_b32_e32 v177, v20                                    // 000000003F0C: 7F620314
	v_max3_f32 v177, v20, v21, v177                            // 000000003F10: D1D300B1 06C62B14
	v_max3_f32 v177, v22, v23, v177                            // 000000003F18: D1D300B1 06C62F16
	v_max3_f32 v177, v24, v25, v177                            // 000000003F20: D1D300B1 06C63318
	v_max3_f32 v177, v26, v27, v177                            // 000000003F28: D1D300B1 06C6371A
	v_max3_f32 v177, v28, v29, v177                            // 000000003F30: D1D300B1 06C63B1C
	v_max3_f32 v177, v30, v31, v177                            // 000000003F38: D1D300B1 06C63F1E
	v_max3_f32 v177, v32, v33, v177                            // 000000003F40: D1D300B1 06C64320
	v_max3_f32 v177, v34, v35, v177                            // 000000003F48: D1D300B1 06C64722
	v_mov_b32_e32 v178, v36                                    // 000000003F50: 7F640324
	v_max3_f32 v178, v36, v37, v178                            // 000000003F54: D1D300B2 06CA4B24
	v_max3_f32 v178, v38, v39, v178                            // 000000003F5C: D1D300B2 06CA4F26
	v_max3_f32 v178, v40, v41, v178                            // 000000003F64: D1D300B2 06CA5328
	v_max3_f32 v178, v42, v43, v178                            // 000000003F6C: D1D300B2 06CA572A
	v_max3_f32 v178, v44, v45, v178                            // 000000003F74: D1D300B2 06CA5B2C
	v_max3_f32 v178, v46, v47, v178                            // 000000003F7C: D1D300B2 06CA5F2E
	v_max3_f32 v178, v48, v49, v178                            // 000000003F84: D1D300B2 06CA6330
	v_max3_f32 v178, v50, v51, v178                            // 000000003F8C: D1D300B2 06CA6732
	v_mov_b32_e32 v179, v52                                    // 000000003F94: 7F660334
	v_max3_f32 v179, v52, v53, v179                            // 000000003F98: D1D300B3 06CE6B34
	v_max3_f32 v179, v54, v55, v179                            // 000000003FA0: D1D300B3 06CE6F36
	v_max3_f32 v179, v56, v57, v179                            // 000000003FA8: D1D300B3 06CE7338
	v_max3_f32 v179, v58, v59, v179                            // 000000003FB0: D1D300B3 06CE773A
	v_max3_f32 v179, v60, v61, v179                            // 000000003FB8: D1D300B3 06CE7B3C
	v_max3_f32 v179, v62, v63, v179                            // 000000003FC0: D1D300B3 06CE7F3E
	v_max3_f32 v179, v64, v65, v179                            // 000000003FC8: D1D300B3 06CE8340
	v_max3_f32 v179, v66, v67, v179                            // 000000003FD0: D1D300B3 06CE8742
	ds_bpermute_b32 v180, v200, v176                           // 000000003FD8: D87E0000 B400B0C8
	ds_bpermute_b32 v181, v201, v176                           // 000000003FE0: D87E0000 B500B0C9
	ds_bpermute_b32 v182, v202, v176                           // 000000003FE8: D87E0000 B600B0CA
	ds_bpermute_b32 v183, v200, v177                           // 000000003FF0: D87E0000 B700B1C8
	ds_bpermute_b32 v184, v201, v177                           // 000000003FF8: D87E0000 B800B1C9
	ds_bpermute_b32 v185, v202, v177                           // 000000004000: D87E0000 B900B1CA
	ds_bpermute_b32 v186, v200, v178                           // 000000004008: D87E0000 BA00B2C8
	ds_bpermute_b32 v187, v201, v178                           // 000000004010: D87E0000 BB00B2C9
	ds_bpermute_b32 v188, v202, v178                           // 000000004018: D87E0000 BC00B2CA
	ds_bpermute_b32 v189, v200, v179                           // 000000004020: D87E0000 BD00B3C8
	ds_bpermute_b32 v190, v201, v179                           // 000000004028: D87E0000 BE00B3C9
	ds_bpermute_b32 v191, v202, v179                           // 000000004030: D87E0000 BF00B3CA
	v_pk_mul_f32 v[100:101], v[160:161], v[100:101]            // 000000004038: D3B14064 1802C9A0
	v_pk_mul_f32 v[102:103], v[160:161], v[102:103]            // 000000004040: D3B14066 1802CDA0
	v_pk_mul_f32 v[104:105], v[160:161], v[104:105]            // 000000004048: D3B14068 1802D1A0
	v_pk_mul_f32 v[106:107], v[160:161], v[106:107]            // 000000004050: D3B1406A 1802D5A0
	v_pk_mul_f32 v[108:109], v[162:163], v[108:109]            // 000000004058: D3B1406C 1802D9A2
	v_pk_mul_f32 v[110:111], v[162:163], v[110:111]            // 000000004060: D3B1406E 1802DDA2
	v_pk_mul_f32 v[112:113], v[162:163], v[112:113]            // 000000004068: D3B14070 1802E1A2
	v_pk_mul_f32 v[114:115], v[162:163], v[114:115]            // 000000004070: D3B14072 1802E5A2
	v_pk_mul_f32 v[116:117], v[164:165], v[116:117]            // 000000004078: D3B14074 1802E9A4
	v_pk_mul_f32 v[118:119], v[164:165], v[118:119]            // 000000004080: D3B14076 1802EDA4
	v_pk_mul_f32 v[120:121], v[164:165], v[120:121]            // 000000004088: D3B14078 1802F1A4
	v_pk_mul_f32 v[122:123], v[164:165], v[122:123]            // 000000004090: D3B1407A 1802F5A4
	v_pk_mul_f32 v[124:125], v[166:167], v[124:125]            // 000000004098: D3B1407C 1802F9A6
	v_pk_mul_f32 v[126:127], v[166:167], v[126:127]            // 0000000040A0: D3B1407E 1802FDA6
	v_pk_mul_f32 v[128:129], v[166:167], v[128:129]            // 0000000040A8: D3B14080 180301A6
	v_pk_mul_f32 v[130:131], v[166:167], v[130:131]            // 0000000040B0: D3B14082 180305A6
	s_waitcnt lgkmcnt(9)                                       // 0000000040B8: BF8CC97F
	v_max3_f32 v176, v180, v181, v176                          // 0000000040BC: D1D300B0 06C36BB4
	v_max_f32_e32 v176, v182, v176                             // 0000000040C4: 176161B6
	s_waitcnt lgkmcnt(6)                                       // 0000000040C8: BF8CC67F
	v_max3_f32 v177, v183, v184, v177                          // 0000000040CC: D1D300B1 06C771B7
	v_max_f32_e32 v177, v185, v177                             // 0000000040D4: 176363B9
	s_waitcnt lgkmcnt(3)                                       // 0000000040D8: BF8CC37F
	v_max3_f32 v178, v186, v187, v178                          // 0000000040DC: D1D300B2 06CB77BA
	v_max_f32_e32 v178, v188, v178                             // 0000000040E4: 176565BC
	s_waitcnt lgkmcnt(0)                                       // 0000000040E8: BF8CC07F
	v_max3_f32 v179, v189, v190, v179                          // 0000000040EC: D1D300B3 06CF7DBD
	v_max_f32_e32 v179, v191, v179                             // 0000000040F4: 176767BF
	ds_write_b128 v247, v[176:179]                             // 0000000040F8: D9BE0000 0000B0F7
	s_waitcnt lgkmcnt(0)                                       // 000000004100: BF8CC07F
	s_barrier                                                  // 000000004104: BF8A0000
	ds_read_b128 v[180:183], v248                              // 000000004108: D9FE0000 B40000F8
	ds_read_b128 v[184:187], v248 offset:256                   // 000000004110: D9FE0100 B80000F8
	ds_read_b128 v[188:191], v248 offset:512                   // 000000004118: D9FE0200 BC0000F8
	ds_read_b128 v[192:195], v248 offset:768                   // 000000004120: D9FE0300 C00000F8
	v_pk_mul_f32 v[68:69], v[144:145], v[68:69]                // 000000004128: D3B14044 18028990
	v_pk_mul_f32 v[70:71], v[144:145], v[70:71]                // 000000004130: D3B14046 18028D90
	v_pk_mul_f32 v[72:73], v[144:145], v[72:73]                // 000000004138: D3B14048 18029190
	v_pk_mul_f32 v[74:75], v[144:145], v[74:75]                // 000000004140: D3B1404A 18029590
	v_pk_mul_f32 v[76:77], v[146:147], v[76:77]                // 000000004148: D3B1404C 18029992
	v_pk_mul_f32 v[78:79], v[146:147], v[78:79]                // 000000004150: D3B1404E 18029D92
	v_pk_mul_f32 v[80:81], v[146:147], v[80:81]                // 000000004158: D3B14050 1802A192
	v_pk_mul_f32 v[82:83], v[146:147], v[82:83]                // 000000004160: D3B14052 1802A592
	v_pk_mul_f32 v[84:85], v[148:149], v[84:85]                // 000000004168: D3B14054 1802A994
	v_pk_mul_f32 v[86:87], v[148:149], v[86:87]                // 000000004170: D3B14056 1802AD94
	v_pk_mul_f32 v[88:89], v[148:149], v[88:89]                // 000000004178: D3B14058 1802B194
	v_pk_mul_f32 v[90:91], v[148:149], v[90:91]                // 000000004180: D3B1405A 1802B594
	v_pk_mul_f32 v[92:93], v[150:151], v[92:93]                // 000000004188: D3B1405C 1802B996
	v_pk_mul_f32 v[94:95], v[150:151], v[94:95]                // 000000004190: D3B1405E 1802BD96
	v_pk_mul_f32 v[96:97], v[150:151], v[96:97]                // 000000004198: D3B14060 1802C196
	v_pk_mul_f32 v[98:99], v[150:151], v[98:99]                // 0000000041A0: D3B14062 1802C596
	s_waitcnt lgkmcnt(0)                                       // 0000000041A8: BF8CC07F
	v_max3_f32 v176, v180, v184, v176                          // 0000000041AC: D1D300B0 06C371B4
	v_max3_f32 v177, v181, v185, v177                          // 0000000041B4: D1D300B1 06C773B5
	v_max3_f32 v178, v182, v186, v178                          // 0000000041BC: D1D300B2 06CB75B6
	v_max3_f32 v179, v183, v187, v179                          // 0000000041C4: D1D300B3 06CF77B7
	v_max3_f32 v176, v188, v192, v176                          // 0000000041CC: D1D300B0 06C381BC
	v_max3_f32 v177, v189, v193, v177                          // 0000000041D4: D1D300B1 06C783BD
	v_max3_f32 v178, v190, v194, v178                          // 0000000041DC: D1D300B2 06CB85BE
	v_max3_f32 v179, v191, v195, v179                          // 0000000041E4: D1D300B3 06CF87BF
	v_max_f32_e32 v156, v176, v152                             // 0000000041EC: 173931B0
	v_mul_f32_e64 v196, -s46, v156                             // 0000000041F0: D10500C4 2003382E
	v_mov_b32_e32 v197, v196                                   // 0000000041F8: 7F8A03C4
	v_pk_fma_f32 v[4:5], v[4:5], s[46:47], v[196:197]          // 0000000041FC: D3B04004 1F105D04
	v_pk_fma_f32 v[6:7], v[6:7], s[46:47], v[196:197]          // 000000004204: D3B04006 1F105D06
	v_exp_f32_e32 v4, v4                                       // 00000000420C: 7E084104
	v_exp_f32_e32 v5, v5                                       // 000000004210: 7E0A4105
	v_exp_f32_e32 v6, v6                                       // 000000004214: 7E0C4106
	v_exp_f32_e32 v7, v7                                       // 000000004218: 7E0E4107
	v_pk_fma_f32 v[8:9], v[8:9], s[46:47], v[196:197]          // 00000000421C: D3B04008 1F105D08
	v_pk_fma_f32 v[10:11], v[10:11], s[46:47], v[196:197]      // 000000004224: D3B0400A 1F105D0A
	v_exp_f32_e32 v8, v8                                       // 00000000422C: 7E104108
	v_exp_f32_e32 v9, v9                                       // 000000004230: 7E124109
	v_exp_f32_e32 v10, v10                                     // 000000004234: 7E14410A
	v_exp_f32_e32 v11, v11                                     // 000000004238: 7E16410B
	v_pk_fma_f32 v[12:13], v[12:13], s[46:47], v[196:197]      // 00000000423C: D3B0400C 1F105D0C
	v_pk_fma_f32 v[14:15], v[14:15], s[46:47], v[196:197]      // 000000004244: D3B0400E 1F105D0E
	v_exp_f32_e32 v12, v12                                     // 00000000424C: 7E18410C
	v_exp_f32_e32 v13, v13                                     // 000000004250: 7E1A410D
	v_exp_f32_e32 v14, v14                                     // 000000004254: 7E1C410E
	v_exp_f32_e32 v15, v15                                     // 000000004258: 7E1E410F
	v_pk_fma_f32 v[16:17], v[16:17], s[46:47], v[196:197]      // 00000000425C: D3B04010 1F105D10
	v_pk_fma_f32 v[18:19], v[18:19], s[46:47], v[196:197]      // 000000004264: D3B04012 1F105D12
	v_exp_f32_e32 v16, v16                                     // 00000000426C: 7E204110
	v_exp_f32_e32 v17, v17                                     // 000000004270: 7E224111
	v_exp_f32_e32 v18, v18                                     // 000000004274: 7E244112
	v_exp_f32_e32 v19, v19                                     // 000000004278: 7E264113
	v_max_f32_e32 v157, v177, v153                             // 00000000427C: 173B33B1
	v_mul_f32_e64 v196, -s46, v157                             // 000000004280: D10500C4 20033A2E
	v_mov_b32_e32 v197, v196                                   // 000000004288: 7F8A03C4
	v_pk_fma_f32 v[20:21], v[20:21], s[46:47], v[196:197]      // 00000000428C: D3B04014 1F105D14
	v_pk_fma_f32 v[22:23], v[22:23], s[46:47], v[196:197]      // 000000004294: D3B04016 1F105D16
	v_exp_f32_e32 v20, v20                                     // 00000000429C: 7E284114
	v_exp_f32_e32 v21, v21                                     // 0000000042A0: 7E2A4115
	v_exp_f32_e32 v22, v22                                     // 0000000042A4: 7E2C4116
	v_exp_f32_e32 v23, v23                                     // 0000000042A8: 7E2E4117
	v_pk_fma_f32 v[24:25], v[24:25], s[46:47], v[196:197]      // 0000000042AC: D3B04018 1F105D18
	v_pk_fma_f32 v[26:27], v[26:27], s[46:47], v[196:197]      // 0000000042B4: D3B0401A 1F105D1A
	v_exp_f32_e32 v24, v24                                     // 0000000042BC: 7E304118
	v_exp_f32_e32 v25, v25                                     // 0000000042C0: 7E324119
	v_exp_f32_e32 v26, v26                                     // 0000000042C4: 7E34411A
	v_exp_f32_e32 v27, v27                                     // 0000000042C8: 7E36411B
	v_pk_fma_f32 v[28:29], v[28:29], s[46:47], v[196:197]      // 0000000042CC: D3B0401C 1F105D1C
	v_pk_fma_f32 v[30:31], v[30:31], s[46:47], v[196:197]      // 0000000042D4: D3B0401E 1F105D1E
	v_exp_f32_e32 v28, v28                                     // 0000000042DC: 7E38411C
	v_exp_f32_e32 v29, v29                                     // 0000000042E0: 7E3A411D
	v_exp_f32_e32 v30, v30                                     // 0000000042E4: 7E3C411E
	v_exp_f32_e32 v31, v31                                     // 0000000042E8: 7E3E411F
	v_pk_fma_f32 v[32:33], v[32:33], s[46:47], v[196:197]      // 0000000042EC: D3B04020 1F105D20
	v_pk_fma_f32 v[34:35], v[34:35], s[46:47], v[196:197]      // 0000000042F4: D3B04022 1F105D22
	v_exp_f32_e32 v32, v32                                     // 0000000042FC: 7E404120
	v_exp_f32_e32 v33, v33                                     // 000000004300: 7E424121
	v_exp_f32_e32 v34, v34                                     // 000000004304: 7E444122
	v_exp_f32_e32 v35, v35                                     // 000000004308: 7E464123
	v_max_f32_e32 v158, v178, v154                             // 00000000430C: 173D35B2
	v_mul_f32_e64 v196, -s46, v158                             // 000000004310: D10500C4 20033C2E
	v_mov_b32_e32 v197, v196                                   // 000000004318: 7F8A03C4
	v_pk_fma_f32 v[36:37], v[36:37], s[46:47], v[196:197]      // 00000000431C: D3B04024 1F105D24
	v_pk_fma_f32 v[38:39], v[38:39], s[46:47], v[196:197]      // 000000004324: D3B04026 1F105D26
	v_exp_f32_e32 v36, v36                                     // 00000000432C: 7E484124
	v_exp_f32_e32 v37, v37                                     // 000000004330: 7E4A4125
	v_exp_f32_e32 v38, v38                                     // 000000004334: 7E4C4126
	v_exp_f32_e32 v39, v39                                     // 000000004338: 7E4E4127
	v_pk_fma_f32 v[40:41], v[40:41], s[46:47], v[196:197]      // 00000000433C: D3B04028 1F105D28
	v_pk_fma_f32 v[42:43], v[42:43], s[46:47], v[196:197]      // 000000004344: D3B0402A 1F105D2A
	v_exp_f32_e32 v40, v40                                     // 00000000434C: 7E504128
	v_exp_f32_e32 v41, v41                                     // 000000004350: 7E524129
	v_exp_f32_e32 v42, v42                                     // 000000004354: 7E54412A
	v_exp_f32_e32 v43, v43                                     // 000000004358: 7E56412B
	v_pk_fma_f32 v[44:45], v[44:45], s[46:47], v[196:197]      // 00000000435C: D3B0402C 1F105D2C
	v_pk_fma_f32 v[46:47], v[46:47], s[46:47], v[196:197]      // 000000004364: D3B0402E 1F105D2E
	v_exp_f32_e32 v44, v44                                     // 00000000436C: 7E58412C
	v_exp_f32_e32 v45, v45                                     // 000000004370: 7E5A412D
	v_exp_f32_e32 v46, v46                                     // 000000004374: 7E5C412E
	v_exp_f32_e32 v47, v47                                     // 000000004378: 7E5E412F
	v_pk_fma_f32 v[48:49], v[48:49], s[46:47], v[196:197]      // 00000000437C: D3B04030 1F105D30
	v_pk_fma_f32 v[50:51], v[50:51], s[46:47], v[196:197]      // 000000004384: D3B04032 1F105D32
	v_exp_f32_e32 v48, v48                                     // 00000000438C: 7E604130
	v_exp_f32_e32 v49, v49                                     // 000000004390: 7E624131
	v_exp_f32_e32 v50, v50                                     // 000000004394: 7E644132
	v_exp_f32_e32 v51, v51                                     // 000000004398: 7E664133
	v_max_f32_e32 v159, v179, v155                             // 00000000439C: 173F37B3
	v_mul_f32_e64 v196, -s46, v159                             // 0000000043A0: D10500C4 20033E2E
	v_mov_b32_e32 v197, v196                                   // 0000000043A8: 7F8A03C4
	v_pk_fma_f32 v[52:53], v[52:53], s[46:47], v[196:197]      // 0000000043AC: D3B04034 1F105D34
	v_pk_fma_f32 v[54:55], v[54:55], s[46:47], v[196:197]      // 0000000043B4: D3B04036 1F105D36
	v_exp_f32_e32 v52, v52                                     // 0000000043BC: 7E684134
	v_exp_f32_e32 v53, v53                                     // 0000000043C0: 7E6A4135
	v_exp_f32_e32 v54, v54                                     // 0000000043C4: 7E6C4136
	v_exp_f32_e32 v55, v55                                     // 0000000043C8: 7E6E4137
	v_pk_fma_f32 v[56:57], v[56:57], s[46:47], v[196:197]      // 0000000043CC: D3B04038 1F105D38
	v_pk_fma_f32 v[58:59], v[58:59], s[46:47], v[196:197]      // 0000000043D4: D3B0403A 1F105D3A
	v_exp_f32_e32 v56, v56                                     // 0000000043DC: 7E704138
	v_exp_f32_e32 v57, v57                                     // 0000000043E0: 7E724139
	v_exp_f32_e32 v58, v58                                     // 0000000043E4: 7E74413A
	v_exp_f32_e32 v59, v59                                     // 0000000043E8: 7E76413B
	v_pk_fma_f32 v[60:61], v[60:61], s[46:47], v[196:197]      // 0000000043EC: D3B0403C 1F105D3C
	v_pk_fma_f32 v[62:63], v[62:63], s[46:47], v[196:197]      // 0000000043F4: D3B0403E 1F105D3E
	v_exp_f32_e32 v60, v60                                     // 0000000043FC: 7E78413C
	v_exp_f32_e32 v61, v61                                     // 000000004400: 7E7A413D
	v_exp_f32_e32 v62, v62                                     // 000000004404: 7E7C413E
	v_exp_f32_e32 v63, v63                                     // 000000004408: 7E7E413F
	v_pk_fma_f32 v[64:65], v[64:65], s[46:47], v[196:197]      // 00000000440C: D3B04040 1F105D40
	v_pk_fma_f32 v[66:67], v[66:67], s[46:47], v[196:197]      // 000000004414: D3B04042 1F105D42
	v_exp_f32_e32 v64, v64                                     // 00000000441C: 7E804140
	v_exp_f32_e32 v65, v65                                     // 000000004420: 7E824141
	v_exp_f32_e32 v66, v66                                     // 000000004424: 7E844142
	v_exp_f32_e32 v67, v67                                     // 000000004428: 7E864143
	v_sub_f32_e32 v160, v152, v156                             // 00000000442C: 05413998
	v_cmp_eq_u32_e64 s[98:99], v216, v152                      // 000000004430: D0CA0062 000331D8
	v_cndmask_b32_e64 v160, v160, 0, s[98:99]                  // 000000004438: D10000A0 018901A0
	v_mov_b32_e32 v152, v156                                   // 000000004440: 7F30039C
	v_mul_f32_e32 v160, s46, v160                              // 000000004444: 0B41402E
	v_exp_f32_e32 v160, v160                                   // 000000004448: 7F4041A0
	v_sub_f32_e32 v162, v153, v157                             // 00000000444C: 05453B99
	v_cmp_eq_u32_e64 s[98:99], v216, v153                      // 000000004450: D0CA0062 000333D8
	v_cndmask_b32_e64 v162, v162, 0, s[98:99]                  // 000000004458: D10000A2 018901A2
	v_mov_b32_e32 v153, v157                                   // 000000004460: 7F32039D
	v_mul_f32_e32 v162, s46, v162                              // 000000004464: 0B45442E
	v_exp_f32_e32 v162, v162                                   // 000000004468: 7F4441A2
	v_sub_f32_e32 v164, v154, v158                             // 00000000446C: 05493D9A
	v_cmp_eq_u32_e64 s[98:99], v216, v154                      // 000000004470: D0CA0062 000335D8
	v_cndmask_b32_e64 v164, v164, 0, s[98:99]                  // 000000004478: D10000A4 018901A4
	v_mov_b32_e32 v154, v158                                   // 000000004480: 7F34039E
	v_mul_f32_e32 v164, s46, v164                              // 000000004484: 0B49482E
	v_exp_f32_e32 v164, v164                                   // 000000004488: 7F4841A4
	v_sub_f32_e32 v166, v155, v159                             // 00000000448C: 054D3F9B
	v_cmp_eq_u32_e64 s[98:99], v216, v155                      // 000000004490: D0CA0062 000337D8
	v_cndmask_b32_e64 v166, v166, 0, s[98:99]                  // 000000004498: D10000A6 018901A6
	v_mov_b32_e32 v155, v159                                   // 0000000044A0: 7F36039F
	v_mul_f32_e32 v166, s46, v166                              // 0000000044A4: 0B4D4C2E
	v_exp_f32_e32 v166, v166                                   // 0000000044A8: 7F4C41A6
	v_mov_b32_e32 v161, v160                                   // 0000000044AC: 7F4203A0
	v_mov_b32_e32 v163, v162                                   // 0000000044B0: 7F4603A2
	v_mov_b32_e32 v165, v164                                   // 0000000044B4: 7F4A03A4
	v_mov_b32_e32 v167, v166                                   // 0000000044B8: 7F4E03A6
	v_mul_f32_e32 v168, v160, v168                             // 0000000044BC: 0B5151A0
	v_mov_b32_e32 v169, 0                                      // 0000000044C0: 7F520280
	v_pk_add_f32 v[168:169], v[4:5], v[168:169]                // 0000000044C4: D3B240A8 18035104
	v_pk_add_f32 v[168:169], v[6:7], v[168:169]                // 0000000044CC: D3B240A8 18035106
	v_pk_add_f32 v[168:169], v[8:9], v[168:169]                // 0000000044D4: D3B240A8 18035108
	v_pk_add_f32 v[168:169], v[10:11], v[168:169]              // 0000000044DC: D3B240A8 1803510A
	v_pk_add_f32 v[168:169], v[12:13], v[168:169]              // 0000000044E4: D3B240A8 1803510C
	v_pk_add_f32 v[168:169], v[14:15], v[168:169]              // 0000000044EC: D3B240A8 1803510E
	v_pk_add_f32 v[168:169], v[16:17], v[168:169]              // 0000000044F4: D3B240A8 18035110
	v_pk_add_f32 v[168:169], v[18:19], v[168:169]              // 0000000044FC: D3B240A8 18035112
	v_add_f32_e32 v168, v169, v168                             // 000000004504: 035151A9
	v_mul_f32_e32 v170, v162, v170                             // 000000004508: 0B5555A2
	v_mov_b32_e32 v171, 0                                      // 00000000450C: 7F560280
	v_pk_add_f32 v[170:171], v[20:21], v[170:171]              // 000000004510: D3B240AA 18035514
	v_pk_add_f32 v[170:171], v[22:23], v[170:171]              // 000000004518: D3B240AA 18035516
	;; [unrolled: 1-line block ×3, first 2 shown]
	v_pk_add_f32 v[170:171], v[26:27], v[170:171]              // 000000004528: D3B240AA 1803551A
	v_pk_add_f32 v[170:171], v[28:29], v[170:171]              // 000000004530: D3B240AA 1803551C
	v_pk_add_f32 v[170:171], v[30:31], v[170:171]              // 000000004538: D3B240AA 1803551E
	v_pk_add_f32 v[170:171], v[32:33], v[170:171]              // 000000004540: D3B240AA 18035520
	v_pk_add_f32 v[170:171], v[34:35], v[170:171]              // 000000004548: D3B240AA 18035522
	v_add_f32_e32 v170, v171, v170                             // 000000004550: 035555AB
	v_mul_f32_e32 v172, v164, v172                             // 000000004554: 0B5959A4
	v_mov_b32_e32 v173, 0                                      // 000000004558: 7F5A0280
	v_pk_add_f32 v[172:173], v[36:37], v[172:173]              // 00000000455C: D3B240AC 18035924
	v_pk_add_f32 v[172:173], v[38:39], v[172:173]              // 000000004564: D3B240AC 18035926
	v_pk_add_f32 v[172:173], v[40:41], v[172:173]              // 00000000456C: D3B240AC 18035928
	v_pk_add_f32 v[172:173], v[42:43], v[172:173]              // 000000004574: D3B240AC 1803592A
	v_pk_add_f32 v[172:173], v[44:45], v[172:173]              // 00000000457C: D3B240AC 1803592C
	v_pk_add_f32 v[172:173], v[46:47], v[172:173]              // 000000004584: D3B240AC 1803592E
	v_pk_add_f32 v[172:173], v[48:49], v[172:173]              // 00000000458C: D3B240AC 18035930
	v_pk_add_f32 v[172:173], v[50:51], v[172:173]              // 000000004594: D3B240AC 18035932
	v_add_f32_e32 v172, v173, v172                             // 00000000459C: 035959AD
	v_mul_f32_e32 v174, v166, v174                             // 0000000045A0: 0B5D5DA6
	v_mov_b32_e32 v175, 0                                      // 0000000045A4: 7F5E0280
	v_pk_add_f32 v[174:175], v[52:53], v[174:175]              // 0000000045A8: D3B240AE 18035D34
	v_pk_add_f32 v[174:175], v[54:55], v[174:175]              // 0000000045B0: D3B240AE 18035D36
	v_pk_add_f32 v[174:175], v[56:57], v[174:175]              // 0000000045B8: D3B240AE 18035D38
	v_pk_add_f32 v[174:175], v[58:59], v[174:175]              // 0000000045C0: D3B240AE 18035D3A
	v_pk_add_f32 v[174:175], v[60:61], v[174:175]              // 0000000045C8: D3B240AE 18035D3C
	v_pk_add_f32 v[174:175], v[62:63], v[174:175]              // 0000000045D0: D3B240AE 18035D3E
	v_pk_add_f32 v[174:175], v[64:65], v[174:175]              // 0000000045D8: D3B240AE 18035D40
	v_pk_add_f32 v[174:175], v[66:67], v[174:175]              // 0000000045E0: D3B240AE 18035D42
	v_add_f32_e32 v174, v175, v174                             // 0000000045E8: 035D5DAF
	v_mul_f32_dpp v4, v142, v4 row_newbcast:0 row_mask:0xf bank_mask:0xf// 0000000045EC: 0A0808FA FF01508E
	v_mul_f32_dpp v5, v142, v5 row_newbcast:1 row_mask:0xf bank_mask:0xf// 0000000045F4: 0A0A0AFA FF01518E
	v_mul_f32_dpp v6, v142, v6 row_newbcast:2 row_mask:0xf bank_mask:0xf// 0000000045FC: 0A0C0CFA FF01528E
	v_mul_f32_dpp v7, v142, v7 row_newbcast:3 row_mask:0xf bank_mask:0xf// 000000004604: 0A0E0EFA FF01538E
	v_mul_f32_dpp v8, v142, v8 row_newbcast:4 row_mask:0xf bank_mask:0xf// 00000000460C: 0A1010FA FF01548E
	v_mul_f32_dpp v9, v142, v9 row_newbcast:5 row_mask:0xf bank_mask:0xf// 000000004614: 0A1212FA FF01558E
	v_mul_f32_dpp v10, v142, v10 row_newbcast:6 row_mask:0xf bank_mask:0xf// 00000000461C: 0A1414FA FF01568E
	v_mul_f32_dpp v11, v142, v11 row_newbcast:7 row_mask:0xf bank_mask:0xf// 000000004624: 0A1616FA FF01578E
	v_mul_f32_dpp v12, v142, v12 row_newbcast:8 row_mask:0xf bank_mask:0xf// 00000000462C: 0A1818FA FF01588E
	v_mul_f32_dpp v13, v142, v13 row_newbcast:9 row_mask:0xf bank_mask:0xf// 000000004634: 0A1A1AFA FF01598E
	v_mul_f32_dpp v14, v142, v14 row_newbcast:10 row_mask:0xf bank_mask:0xf// 00000000463C: 0A1C1CFA FF015A8E
	v_mul_f32_dpp v15, v142, v15 row_newbcast:11 row_mask:0xf bank_mask:0xf// 000000004644: 0A1E1EFA FF015B8E
	v_mul_f32_dpp v16, v142, v16 row_newbcast:12 row_mask:0xf bank_mask:0xf// 00000000464C: 0A2020FA FF015C8E
	v_mul_f32_dpp v17, v142, v17 row_newbcast:13 row_mask:0xf bank_mask:0xf// 000000004654: 0A2222FA FF015D8E
	v_mul_f32_dpp v18, v142, v18 row_newbcast:14 row_mask:0xf bank_mask:0xf// 00000000465C: 0A2424FA FF015E8E
	v_mul_f32_dpp v19, v142, v19 row_newbcast:15 row_mask:0xf bank_mask:0xf// 000000004664: 0A2626FA FF015F8E
	v_mul_f32_dpp v20, v142, v20 row_newbcast:0 row_mask:0xf bank_mask:0xf// 00000000466C: 0A2828FA FF01508E
	v_mul_f32_dpp v21, v142, v21 row_newbcast:1 row_mask:0xf bank_mask:0xf// 000000004674: 0A2A2AFA FF01518E
	v_mul_f32_dpp v22, v142, v22 row_newbcast:2 row_mask:0xf bank_mask:0xf// 00000000467C: 0A2C2CFA FF01528E
	v_mul_f32_dpp v23, v142, v23 row_newbcast:3 row_mask:0xf bank_mask:0xf// 000000004684: 0A2E2EFA FF01538E
	v_mul_f32_dpp v24, v142, v24 row_newbcast:4 row_mask:0xf bank_mask:0xf// 00000000468C: 0A3030FA FF01548E
	v_mul_f32_dpp v25, v142, v25 row_newbcast:5 row_mask:0xf bank_mask:0xf// 000000004694: 0A3232FA FF01558E
	v_mul_f32_dpp v26, v142, v26 row_newbcast:6 row_mask:0xf bank_mask:0xf// 00000000469C: 0A3434FA FF01568E
	v_mul_f32_dpp v27, v142, v27 row_newbcast:7 row_mask:0xf bank_mask:0xf// 0000000046A4: 0A3636FA FF01578E
	v_mul_f32_dpp v28, v142, v28 row_newbcast:8 row_mask:0xf bank_mask:0xf// 0000000046AC: 0A3838FA FF01588E
	v_mul_f32_dpp v29, v142, v29 row_newbcast:9 row_mask:0xf bank_mask:0xf// 0000000046B4: 0A3A3AFA FF01598E
	v_mul_f32_dpp v30, v142, v30 row_newbcast:10 row_mask:0xf bank_mask:0xf// 0000000046BC: 0A3C3CFA FF015A8E
	v_mul_f32_dpp v31, v142, v31 row_newbcast:11 row_mask:0xf bank_mask:0xf// 0000000046C4: 0A3E3EFA FF015B8E
	v_mul_f32_dpp v32, v142, v32 row_newbcast:12 row_mask:0xf bank_mask:0xf// 0000000046CC: 0A4040FA FF015C8E
	v_mul_f32_dpp v33, v142, v33 row_newbcast:13 row_mask:0xf bank_mask:0xf// 0000000046D4: 0A4242FA FF015D8E
	v_mul_f32_dpp v34, v142, v34 row_newbcast:14 row_mask:0xf bank_mask:0xf// 0000000046DC: 0A4444FA FF015E8E
	v_mul_f32_dpp v35, v142, v35 row_newbcast:15 row_mask:0xf bank_mask:0xf// 0000000046E4: 0A4646FA FF015F8E
	v_mul_f32_dpp v36, v142, v36 row_newbcast:0 row_mask:0xf bank_mask:0xf// 0000000046EC: 0A4848FA FF01508E
	v_mul_f32_dpp v37, v142, v37 row_newbcast:1 row_mask:0xf bank_mask:0xf// 0000000046F4: 0A4A4AFA FF01518E
	v_mul_f32_dpp v38, v142, v38 row_newbcast:2 row_mask:0xf bank_mask:0xf// 0000000046FC: 0A4C4CFA FF01528E
	v_mul_f32_dpp v39, v142, v39 row_newbcast:3 row_mask:0xf bank_mask:0xf// 000000004704: 0A4E4EFA FF01538E
	v_mul_f32_dpp v40, v142, v40 row_newbcast:4 row_mask:0xf bank_mask:0xf// 00000000470C: 0A5050FA FF01548E
	v_mul_f32_dpp v41, v142, v41 row_newbcast:5 row_mask:0xf bank_mask:0xf// 000000004714: 0A5252FA FF01558E
	v_mul_f32_dpp v42, v142, v42 row_newbcast:6 row_mask:0xf bank_mask:0xf// 00000000471C: 0A5454FA FF01568E
	v_mul_f32_dpp v43, v142, v43 row_newbcast:7 row_mask:0xf bank_mask:0xf// 000000004724: 0A5656FA FF01578E
	v_mul_f32_dpp v44, v142, v44 row_newbcast:8 row_mask:0xf bank_mask:0xf// 00000000472C: 0A5858FA FF01588E
	v_mul_f32_dpp v45, v142, v45 row_newbcast:9 row_mask:0xf bank_mask:0xf// 000000004734: 0A5A5AFA FF01598E
	v_mul_f32_dpp v46, v142, v46 row_newbcast:10 row_mask:0xf bank_mask:0xf// 00000000473C: 0A5C5CFA FF015A8E
	v_mul_f32_dpp v47, v142, v47 row_newbcast:11 row_mask:0xf bank_mask:0xf// 000000004744: 0A5E5EFA FF015B8E
	v_mul_f32_dpp v48, v142, v48 row_newbcast:12 row_mask:0xf bank_mask:0xf// 00000000474C: 0A6060FA FF015C8E
	v_mul_f32_dpp v49, v142, v49 row_newbcast:13 row_mask:0xf bank_mask:0xf// 000000004754: 0A6262FA FF015D8E
	v_mul_f32_dpp v50, v142, v50 row_newbcast:14 row_mask:0xf bank_mask:0xf// 00000000475C: 0A6464FA FF015E8E
	v_mul_f32_dpp v51, v142, v51 row_newbcast:15 row_mask:0xf bank_mask:0xf// 000000004764: 0A6666FA FF015F8E
	v_mul_f32_dpp v52, v142, v52 row_newbcast:0 row_mask:0xf bank_mask:0xf// 00000000476C: 0A6868FA FF01508E
	v_mul_f32_dpp v53, v142, v53 row_newbcast:1 row_mask:0xf bank_mask:0xf// 000000004774: 0A6A6AFA FF01518E
	v_mul_f32_dpp v54, v142, v54 row_newbcast:2 row_mask:0xf bank_mask:0xf// 00000000477C: 0A6C6CFA FF01528E
	v_mul_f32_dpp v55, v142, v55 row_newbcast:3 row_mask:0xf bank_mask:0xf// 000000004784: 0A6E6EFA FF01538E
	v_mul_f32_dpp v56, v142, v56 row_newbcast:4 row_mask:0xf bank_mask:0xf// 00000000478C: 0A7070FA FF01548E
	v_mul_f32_dpp v57, v142, v57 row_newbcast:5 row_mask:0xf bank_mask:0xf// 000000004794: 0A7272FA FF01558E
	v_mul_f32_dpp v58, v142, v58 row_newbcast:6 row_mask:0xf bank_mask:0xf// 00000000479C: 0A7474FA FF01568E
	v_mul_f32_dpp v59, v142, v59 row_newbcast:7 row_mask:0xf bank_mask:0xf// 0000000047A4: 0A7676FA FF01578E
	v_mul_f32_dpp v60, v142, v60 row_newbcast:8 row_mask:0xf bank_mask:0xf// 0000000047AC: 0A7878FA FF01588E
	v_mul_f32_dpp v61, v142, v61 row_newbcast:9 row_mask:0xf bank_mask:0xf// 0000000047B4: 0A7A7AFA FF01598E
	v_mul_f32_dpp v62, v142, v62 row_newbcast:10 row_mask:0xf bank_mask:0xf// 0000000047BC: 0A7C7CFA FF015A8E
	v_mul_f32_dpp v63, v142, v63 row_newbcast:11 row_mask:0xf bank_mask:0xf// 0000000047C4: 0A7E7EFA FF015B8E
	v_mul_f32_dpp v64, v142, v64 row_newbcast:12 row_mask:0xf bank_mask:0xf// 0000000047CC: 0A8080FA FF015C8E
	v_mul_f32_dpp v65, v142, v65 row_newbcast:13 row_mask:0xf bank_mask:0xf// 0000000047D4: 0A8282FA FF015D8E
	v_mul_f32_dpp v66, v142, v66 row_newbcast:14 row_mask:0xf bank_mask:0xf// 0000000047DC: 0A8484FA FF015E8E
	v_mul_f32_dpp v67, v142, v67 row_newbcast:15 row_mask:0xf bank_mask:0xf// 0000000047E4: 0A8686FA FF015F8E
	buffer_load_dword v141, v231, s[20:23], 0 offen            // 0000000047EC: E0501000 80058DE7
	s_waitcnt lgkmcnt(0)                                       // 0000000047F4: BF8CC07F
	s_barrier                                                  // 0000000047F8: BF8A0000
	buffer_load_dword v143, v232, s[24:27], 0 offen            // 0000000047FC: E0501000 80068FE8
	s_waitcnt lgkmcnt(0)                                       // 000000004804: BF8CC07F
	v_sub_f32_e32 v176, v176, v152                             // 000000004808: 056131B0
	v_sub_f32_e32 v177, v177, v153                             // 00000000480C: 056333B1
	v_sub_f32_e32 v178, v178, v154                             // 000000004810: 056535B2
	v_sub_f32_e32 v179, v179, v155                             // 000000004814: 056737B3
	v_mul_f32_e32 v176, s46, v176                              // 000000004818: 0B61602E
	v_mul_f32_e32 v177, s46, v177                              // 00000000481C: 0B63622E
	v_mul_f32_e32 v178, s46, v178                              // 000000004820: 0B65642E
	v_mul_f32_e32 v179, s46, v179                              // 000000004824: 0B67662E
	v_exp_f32_e32 v176, v176                                   // 000000004828: 7F6041B0
	v_exp_f32_e32 v177, v177                                   // 00000000482C: 7F6241B1
	v_exp_f32_e32 v178, v178                                   // 000000004830: 7F6441B2
	v_exp_f32_e32 v179, v179                                   // 000000004834: 7F6641B3
	v_mul_f32_e32 v176, v142, v176                             // 000000004838: 0B61618E
	v_mul_f32_e32 v177, v142, v177                             // 00000000483C: 0B63638E
	v_mul_f32_e32 v178, v142, v178                             // 000000004840: 0B65658E
	v_mul_f32_e32 v179, v142, v179                             // 000000004844: 0B67678E
	v_add_f32_e32 v176, 0x3089705f, v176                       // 000000004848: 036160FF 3089705F
	v_add_f32_e32 v177, 0x3089705f, v177                       // 000000004850: 036362FF 3089705F
	v_add_f32_e32 v178, 0x3089705f, v178                       // 000000004858: 036564FF 3089705F
	v_add_f32_e32 v179, 0x3089705f, v179                       // 000000004860: 036766FF 3089705F
	v_rcp_f32_e32 v176, v176                                   // 000000004868: 7F6045B0
	v_rcp_f32_e32 v177, v177                                   // 00000000486C: 7F6245B1
	v_rcp_f32_e32 v178, v178                                   // 000000004870: 7F6445B2
	v_rcp_f32_e32 v179, v179                                   // 000000004874: 7F6645B3
	v_mul_f32_e32 v176, 0x43700000, v176                       // 000000004878: 0B6160FF 43700000
	v_mul_f32_e32 v177, 0x43700000, v177                       // 000000004880: 0B6362FF 43700000
	v_mul_f32_e32 v178, 0x43700000, v178                       // 000000004888: 0B6564FF 43700000
	v_mul_f32_e32 v179, 0x43700000, v179                       // 000000004890: 0B6766FF 43700000
	v_mul_f32_e32 v4, v176, v4                                 // 000000004898: 0A0809B0
	v_mul_f32_e32 v5, v176, v5                                 // 00000000489C: 0A0A0BB0
	v_mul_f32_e32 v6, v176, v6                                 // 0000000048A0: 0A0C0DB0
	v_mul_f32_e32 v7, v176, v7                                 // 0000000048A4: 0A0E0FB0
	v_mul_f32_e32 v8, v176, v8                                 // 0000000048A8: 0A1011B0
	v_mul_f32_e32 v9, v176, v9                                 // 0000000048AC: 0A1213B0
	v_mul_f32_e32 v10, v176, v10                               // 0000000048B0: 0A1415B0
	v_mul_f32_e32 v11, v176, v11                               // 0000000048B4: 0A1617B0
	v_mul_f32_e32 v12, v176, v12                               // 0000000048B8: 0A1819B0
	v_mul_f32_e32 v13, v176, v13                               // 0000000048BC: 0A1A1BB0
	v_mul_f32_e32 v14, v176, v14                               // 0000000048C0: 0A1C1DB0
	v_mul_f32_e32 v15, v176, v15                               // 0000000048C4: 0A1E1FB0
	v_mul_f32_e32 v16, v176, v16                               // 0000000048C8: 0A2021B0
	v_mul_f32_e32 v17, v176, v17                               // 0000000048CC: 0A2223B0
	v_mul_f32_e32 v18, v176, v18                               // 0000000048D0: 0A2425B0
	v_mul_f32_e32 v19, v176, v19                               // 0000000048D4: 0A2627B0
	v_mul_f32_e32 v20, v177, v20                               // 0000000048D8: 0A2829B1
	v_mul_f32_e32 v21, v177, v21                               // 0000000048DC: 0A2A2BB1
	v_mul_f32_e32 v22, v177, v22                               // 0000000048E0: 0A2C2DB1
	v_mul_f32_e32 v23, v177, v23                               // 0000000048E4: 0A2E2FB1
	v_mul_f32_e32 v24, v177, v24                               // 0000000048E8: 0A3031B1
	v_mul_f32_e32 v25, v177, v25                               // 0000000048EC: 0A3233B1
	v_mul_f32_e32 v26, v177, v26                               // 0000000048F0: 0A3435B1
	v_mul_f32_e32 v27, v177, v27                               // 0000000048F4: 0A3637B1
	v_mul_f32_e32 v28, v177, v28                               // 0000000048F8: 0A3839B1
	v_mul_f32_e32 v29, v177, v29                               // 0000000048FC: 0A3A3BB1
	v_mul_f32_e32 v30, v177, v30                               // 000000004900: 0A3C3DB1
	v_mul_f32_e32 v31, v177, v31                               // 000000004904: 0A3E3FB1
	v_mul_f32_e32 v32, v177, v32                               // 000000004908: 0A4041B1
	v_mul_f32_e32 v33, v177, v33                               // 00000000490C: 0A4243B1
	v_mul_f32_e32 v34, v177, v34                               // 000000004910: 0A4445B1
	v_mul_f32_e32 v35, v177, v35                               // 000000004914: 0A4647B1
	v_mul_f32_e32 v36, v178, v36                               // 000000004918: 0A4849B2
	v_mul_f32_e32 v37, v178, v37                               // 00000000491C: 0A4A4BB2
	v_mul_f32_e32 v38, v178, v38                               // 000000004920: 0A4C4DB2
	v_mul_f32_e32 v39, v178, v39                               // 000000004924: 0A4E4FB2
	v_mul_f32_e32 v40, v178, v40                               // 000000004928: 0A5051B2
	v_mul_f32_e32 v41, v178, v41                               // 00000000492C: 0A5253B2
	v_mul_f32_e32 v42, v178, v42                               // 000000004930: 0A5455B2
	v_mul_f32_e32 v43, v178, v43                               // 000000004934: 0A5657B2
	v_mul_f32_e32 v44, v178, v44                               // 000000004938: 0A5859B2
	v_mul_f32_e32 v45, v178, v45                               // 00000000493C: 0A5A5BB2
	v_mul_f32_e32 v46, v178, v46                               // 000000004940: 0A5C5DB2
	v_mul_f32_e32 v47, v178, v47                               // 000000004944: 0A5E5FB2
	v_mul_f32_e32 v48, v178, v48                               // 000000004948: 0A6061B2
	v_mul_f32_e32 v49, v178, v49                               // 00000000494C: 0A6263B2
	v_mul_f32_e32 v50, v178, v50                               // 000000004950: 0A6465B2
	v_mul_f32_e32 v51, v178, v51                               // 000000004954: 0A6667B2
	v_mul_f32_e32 v52, v179, v52                               // 000000004958: 0A6869B3
	v_mul_f32_e32 v53, v179, v53                               // 00000000495C: 0A6A6BB3
	v_mul_f32_e32 v54, v179, v54                               // 000000004960: 0A6C6DB3
	v_mul_f32_e32 v55, v179, v55                               // 000000004964: 0A6E6FB3
	v_mul_f32_e32 v56, v179, v56                               // 000000004968: 0A7071B3
	v_mul_f32_e32 v57, v179, v57                               // 00000000496C: 0A7273B3
	v_mul_f32_e32 v58, v179, v58                               // 000000004970: 0A7475B3
	v_mul_f32_e32 v59, v179, v59                               // 000000004974: 0A7677B3
	v_mul_f32_e32 v60, v179, v60                               // 000000004978: 0A7879B3
	v_mul_f32_e32 v61, v179, v61                               // 00000000497C: 0A7A7BB3
	v_mul_f32_e32 v62, v179, v62                               // 000000004980: 0A7C7DB3
	v_mul_f32_e32 v63, v179, v63                               // 000000004984: 0A7E7FB3
	v_mul_f32_e32 v64, v179, v64                               // 000000004988: 0A8081B3
	v_mul_f32_e32 v65, v179, v65                               // 00000000498C: 0A8283B3
	v_mul_f32_e32 v66, v179, v66                               // 000000004990: 0A8485B3
	v_mul_f32_e32 v67, v179, v67                               // 000000004994: 0A8687B3
	v_cvt_pk_fp8_f32 v4, v4, v5                                // 000000004998: D2A20004 00020B04
	v_cvt_pk_fp8_f32 v4, v6, v7 op_sel:[0,0,1]                 // 0000000049A0: D2A24004 00020F06
	v_cvt_pk_fp8_f32 v5, v8, v9                                // 0000000049A8: D2A20005 00021308
	v_cvt_pk_fp8_f32 v5, v10, v11 op_sel:[0,0,1]               // 0000000049B0: D2A24005 0002170A
	v_cvt_pk_fp8_f32 v6, v12, v13                              // 0000000049B8: D2A20006 00021B0C
	v_cvt_pk_fp8_f32 v6, v14, v15 op_sel:[0,0,1]               // 0000000049C0: D2A24006 00021F0E
	v_cvt_pk_fp8_f32 v7, v16, v17                              // 0000000049C8: D2A20007 00022310
	v_cvt_pk_fp8_f32 v7, v18, v19 op_sel:[0,0,1]               // 0000000049D0: D2A24007 00022712
	v_cvt_pk_fp8_f32 v8, v20, v21                              // 0000000049D8: D2A20008 00022B14
	v_cvt_pk_fp8_f32 v8, v22, v23 op_sel:[0,0,1]               // 0000000049E0: D2A24008 00022F16
	v_cvt_pk_fp8_f32 v9, v24, v25                              // 0000000049E8: D2A20009 00023318
	v_cvt_pk_fp8_f32 v9, v26, v27 op_sel:[0,0,1]               // 0000000049F0: D2A24009 0002371A
	v_cvt_pk_fp8_f32 v10, v28, v29                             // 0000000049F8: D2A2000A 00023B1C
	v_cvt_pk_fp8_f32 v10, v30, v31 op_sel:[0,0,1]              // 000000004A00: D2A2400A 00023F1E
	v_cvt_pk_fp8_f32 v11, v32, v33                             // 000000004A08: D2A2000B 00024320
	v_cvt_pk_fp8_f32 v11, v34, v35 op_sel:[0,0,1]              // 000000004A10: D2A2400B 00024722
	v_cvt_pk_fp8_f32 v12, v36, v37                             // 000000004A18: D2A2000C 00024B24
	v_cvt_pk_fp8_f32 v12, v38, v39 op_sel:[0,0,1]              // 000000004A20: D2A2400C 00024F26
	v_cvt_pk_fp8_f32 v13, v40, v41                             // 000000004A28: D2A2000D 00025328
	v_cvt_pk_fp8_f32 v13, v42, v43 op_sel:[0,0,1]              // 000000004A30: D2A2400D 0002572A
	v_cvt_pk_fp8_f32 v14, v44, v45                             // 000000004A38: D2A2000E 00025B2C
	v_cvt_pk_fp8_f32 v14, v46, v47 op_sel:[0,0,1]              // 000000004A40: D2A2400E 00025F2E
	v_cvt_pk_fp8_f32 v15, v48, v49                             // 000000004A48: D2A2000F 00026330
	v_cvt_pk_fp8_f32 v15, v50, v51 op_sel:[0,0,1]              // 000000004A50: D2A2400F 00026732
	v_cvt_pk_fp8_f32 v16, v52, v53                             // 000000004A58: D2A20010 00026B34
	v_cvt_pk_fp8_f32 v16, v54, v55 op_sel:[0,0,1]              // 000000004A60: D2A24010 00026F36
	v_cvt_pk_fp8_f32 v17, v56, v57                             // 000000004A68: D2A20011 00027338
	v_cvt_pk_fp8_f32 v17, v58, v59 op_sel:[0,0,1]              // 000000004A70: D2A24011 0002773A
	v_cvt_pk_fp8_f32 v18, v60, v61                             // 000000004A78: D2A20012 00027B3C
	v_cvt_pk_fp8_f32 v18, v62, v63 op_sel:[0,0,1]              // 000000004A80: D2A24012 00027F3E
	v_cvt_pk_fp8_f32 v19, v64, v65                             // 000000004A88: D2A20013 00028340
	v_cvt_pk_fp8_f32 v19, v66, v67 op_sel:[0,0,1]              // 000000004A90: D2A24013 00028742
	ds_write_b32 v249, v4 offset:8192                          // 000000004A98: D81A2000 000004F9
	ds_write_b32 v249, v5 offset:9216                          // 000000004AA0: D81A2400 000005F9
	ds_write_b32 v249, v6 offset:10240                         // 000000004AA8: D81A2800 000006F9
	ds_write_b32 v249, v7 offset:11264                         // 000000004AB0: D81A2C00 000007F9
	ds_write_b32 v249, v8 offset:12288                         // 000000004AB8: D81A3000 000008F9
	ds_write_b32 v249, v9 offset:13312                         // 000000004AC0: D81A3400 000009F9
	ds_write_b32 v249, v10 offset:14336                        // 000000004AC8: D81A3800 00000AF9
	ds_write_b32 v249, v11 offset:15360                        // 000000004AD0: D81A3C00 00000BF9
	ds_write_b32 v249, v12 offset:16384                        // 000000004AD8: D81A4000 00000CF9
	ds_write_b32 v249, v13 offset:17408                        // 000000004AE0: D81A4400 00000DF9
	ds_write_b32 v249, v14 offset:18432                        // 000000004AE8: D81A4800 00000EF9
	ds_write_b32 v249, v15 offset:19456                        // 000000004AF0: D81A4C00 00000FF9
	ds_write_b32 v249, v16 offset:20480                        // 000000004AF8: D81A5000 000010F9
	ds_write_b32 v249, v17 offset:21504                        // 000000004B00: D81A5400 000011F9
	ds_write_b32 v249, v18 offset:22528                        // 000000004B08: D81A5800 000012F9
	ds_write_b32 v249, v19 offset:23552                        // 000000004B10: D81A5C00 000013F9
	v_rcp_f32_e32 v144, v176                                   // 000000004B18: 7F2045B0
	v_rcp_f32_e32 v146, v177                                   // 000000004B1C: 7F2445B1
	v_rcp_f32_e32 v148, v178                                   // 000000004B20: 7F2845B2
	v_rcp_f32_e32 v150, v179                                   // 000000004B24: 7F2C45B3
	v_mov_b32_e32 v145, v144                                   // 000000004B28: 7F220390
	v_mov_b32_e32 v147, v146                                   // 000000004B2C: 7F260392
	v_mov_b32_e32 v149, v148                                   // 000000004B30: 7F2A0394
	v_mov_b32_e32 v151, v150                                   // 000000004B34: 7F2E0396
	v_pk_add_f32 v[100:101], v[100:101], v[68:69]              // 000000004B38: D3B24064 18028964
	v_pk_add_f32 v[102:103], v[102:103], v[70:71]              // 000000004B40: D3B24066 18028D66
	v_pk_add_f32 v[104:105], v[104:105], v[72:73]              // 000000004B48: D3B24068 18029168
	v_pk_add_f32 v[106:107], v[106:107], v[74:75]              // 000000004B50: D3B2406A 1802956A
	v_pk_add_f32 v[108:109], v[108:109], v[76:77]              // 000000004B58: D3B2406C 1802996C
	v_pk_add_f32 v[110:111], v[110:111], v[78:79]              // 000000004B60: D3B2406E 18029D6E
	v_pk_add_f32 v[112:113], v[112:113], v[80:81]              // 000000004B68: D3B24070 1802A170
	v_pk_add_f32 v[114:115], v[114:115], v[82:83]              // 000000004B70: D3B24072 1802A572
	v_pk_add_f32 v[116:117], v[116:117], v[84:85]              // 000000004B78: D3B24074 1802A974
	v_pk_add_f32 v[118:119], v[118:119], v[86:87]              // 000000004B80: D3B24076 1802AD76
	v_pk_add_f32 v[120:121], v[120:121], v[88:89]              // 000000004B88: D3B24078 1802B178
	v_pk_add_f32 v[122:123], v[122:123], v[90:91]              // 000000004B90: D3B2407A 1802B57A
	v_pk_add_f32 v[124:125], v[124:125], v[92:93]              // 000000004B98: D3B2407C 1802B97C
	v_pk_add_f32 v[126:127], v[126:127], v[94:95]              // 000000004BA0: D3B2407E 1802BD7E
	v_pk_add_f32 v[128:129], v[128:129], v[96:97]              // 000000004BA8: D3B24080 1802C180
	v_pk_add_f32 v[130:131], v[130:131], v[98:99]              // 000000004BB0: D3B24082 1802C582
	s_waitcnt lgkmcnt(0)                                       // 000000004BB8: BF8CC07F
	s_barrier                                                  // 000000004BBC: BF8A0000
	ds_read_b128 v[4:7], v250 offset:8192                      // 000000004BC0: D9FE2000 040000FA
	ds_read_b128 v[8:11], v250 offset:9216                     // 000000004BC8: D9FE2400 080000FA
	ds_read_b128 v[12:15], v250 offset:10240                   // 000000004BD0: D9FE2800 0C0000FA
	ds_read_b128 v[16:19], v250 offset:11264                   // 000000004BD8: D9FE2C00 100000FA
	ds_read_b128 v[20:23], v250 offset:12288                   // 000000004BE0: D9FE3000 140000FA
	ds_read_b128 v[24:27], v250 offset:13312                   // 000000004BE8: D9FE3400 180000FA
	ds_read_b128 v[28:31], v250 offset:14336                   // 000000004BF0: D9FE3800 1C0000FA
	ds_read_b128 v[32:35], v250 offset:15360                   // 000000004BF8: D9FE3C00 200000FA
	ds_read_b128 v[36:39], v250 offset:16384                   // 000000004C00: D9FE4000 240000FA
	ds_read_b128 v[40:43], v250 offset:17408                   // 000000004C08: D9FE4400 280000FA
	ds_read_b128 v[44:47], v250 offset:18432                   // 000000004C10: D9FE4800 2C0000FA
	ds_read_b128 v[48:51], v250 offset:19456                   // 000000004C18: D9FE4C00 300000FA
	ds_read_b128 v[52:55], v250 offset:20480                   // 000000004C20: D9FE5000 340000FA
	ds_read_b128 v[56:59], v250 offset:21504                   // 000000004C28: D9FE5400 380000FA
	ds_read_b128 v[60:63], v250 offset:22528                   // 000000004C30: D9FE5800 3C0000FA
	ds_read_b128 v[64:67], v250 offset:23552                   // 000000004C38: D9FE5C00 400000FA
	s_waitcnt vmcnt(10)                                        // 000000004C40: BF8C0F7A
	s_waitcnt vmcnt(63) expcnt(7) lgkmcnt(15)                  // 000000004C44: BF8CCF7F
	v_mfma_f32_16x16x32_fp8_fp8 v[68:71], a[96:97], v[4:5], 0  // 000000004C48: D3F30044 0A020960
	s_lshl_b32 s68, s76, 2                                     // 000000004C50: 8E44824C
	v_mfma_f32_16x16x32_fp8_fp8 v[72:75], a[112:113], v[4:5], 0// 000000004C54: D3F30048 0A020970
	s_cmp_lt_u32 s76, s77                                      // 000000004C5C: BF0A4D4C
	s_cselect_b32 s68, s68, 0                                  // 000000004C60: 85448044
	v_mfma_f32_16x16x32_fp8_fp8 v[68:71], a[98:99], v[6:7], v[68:71]// 000000004C64: D3F30044 0D120D62
	buffer_load_dwordx4 a[128:131], v227, s[16:19], 0 offen    // 000000004C6C: E05C1000 808480E3
	v_mfma_f32_16x16x32_fp8_fp8 v[72:75], a[114:115], v[6:7], v[72:75]// 000000004C74: D3F30048 0D220D72
	s_addk_i32 s76, 0x1                                        // 000000004C7C: B74C0001
	s_waitcnt lgkmcnt(14)                                      // 000000004C80: BF8CCE7F
	v_mfma_f32_16x16x32_fp8_fp8 v[68:71], a[100:101], v[8:9], v[68:71]// 000000004C84: D3F30044 0D121164
	v_mfma_f32_16x16x32_fp8_fp8 v[72:75], a[116:117], v[8:9], v[72:75]// 000000004C8C: D3F30048 0D221174
	v_mfma_f32_16x16x32_fp8_fp8 v[68:71], a[102:103], v[10:11], v[68:71]// 000000004C94: D3F30044 0D121566
	buffer_load_dwordx4 a[132:135], v228, s[16:19], 0 offen    // 000000004C9C: E05C1000 808484E4
	v_mfma_f32_16x16x32_fp8_fp8 v[72:75], a[118:119], v[10:11], v[72:75]// 000000004CA4: D3F30048 0D221576
	s_waitcnt lgkmcnt(13)                                      // 000000004CAC: BF8CCD7F
	v_mfma_f32_16x16x32_fp8_fp8 v[68:71], a[104:105], v[12:13], v[68:71]// 000000004CB0: D3F30044 0D121968
	v_mfma_f32_16x16x32_fp8_fp8 v[72:75], a[120:121], v[12:13], v[72:75]// 000000004CB8: D3F30048 0D221978
	v_mfma_f32_16x16x32_fp8_fp8 v[68:71], a[106:107], v[14:15], v[68:71]// 000000004CC0: D3F30044 0D121D6A
	buffer_load_dwordx4 a[136:139], v229, s[16:19], 0 offen    // 000000004CC8: E05C1000 808488E5
	v_mfma_f32_16x16x32_fp8_fp8 v[72:75], a[122:123], v[14:15], v[72:75]// 000000004CD0: D3F30048 0D221D7A
	s_waitcnt lgkmcnt(12)                                      // 000000004CD8: BF8CCC7F
	v_mfma_f32_16x16x32_fp8_fp8 v[68:71], a[108:109], v[16:17], v[68:71]// 000000004CDC: D3F30044 0D12216C
	v_mfma_f32_16x16x32_fp8_fp8 v[72:75], a[124:125], v[16:17], v[72:75]// 000000004CE4: D3F30048 0D22217C
	v_mfma_f32_16x16x32_fp8_fp8 v[68:71], a[110:111], v[18:19], v[68:71]// 000000004CEC: D3F30044 0D12256E
	buffer_load_dwordx4 a[140:143], v230, s[16:19], 0 offen    // 000000004CF4: E05C1000 80848CE6
	v_mfma_f32_16x16x32_fp8_fp8 v[72:75], a[126:127], v[18:19], v[72:75]// 000000004CFC: D3F30048 0D22257E
	s_waitcnt lgkmcnt(11)                                      // 000000004D04: BF8CCB7F
	v_mfma_f32_16x16x32_fp8_fp8 v[76:79], a[96:97], v[20:21], 0// 000000004D08: D3F3004C 0A022960
	v_mfma_f32_16x16x32_fp8_fp8 v[80:83], a[112:113], v[20:21], 0// 000000004D10: D3F30050 0A022970
	v_mfma_f32_16x16x32_fp8_fp8 v[76:79], a[98:99], v[22:23], v[76:79]// 000000004D18: D3F3004C 0D322D62
	buffer_load_dwordx4 a[144:147], v227, s[16:19], 0 offen offset:1024// 000000004D20: E05C1400 808490E3
	v_mfma_f32_16x16x32_fp8_fp8 v[80:83], a[114:115], v[22:23], v[80:83]// 000000004D28: D3F30050 0D422D72
	s_waitcnt lgkmcnt(10)                                      // 000000004D30: BF8CCA7F
	v_mfma_f32_16x16x32_fp8_fp8 v[76:79], a[100:101], v[24:25], v[76:79]// 000000004D34: D3F3004C 0D323164
	v_mfma_f32_16x16x32_fp8_fp8 v[80:83], a[116:117], v[24:25], v[80:83]// 000000004D3C: D3F30050 0D423174
	v_mfma_f32_16x16x32_fp8_fp8 v[76:79], a[102:103], v[26:27], v[76:79]// 000000004D44: D3F3004C 0D323566
	buffer_load_dwordx4 a[148:151], v228, s[16:19], 0 offen offset:1024// 000000004D4C: E05C1400 808494E4
	v_mfma_f32_16x16x32_fp8_fp8 v[80:83], a[118:119], v[26:27], v[80:83]// 000000004D54: D3F30050 0D423576
	s_waitcnt lgkmcnt(9)                                       // 000000004D5C: BF8CC97F
	v_mfma_f32_16x16x32_fp8_fp8 v[76:79], a[104:105], v[28:29], v[76:79]// 000000004D60: D3F3004C 0D323968
	v_mfma_f32_16x16x32_fp8_fp8 v[80:83], a[120:121], v[28:29], v[80:83]// 000000004D68: D3F30050 0D423978
	v_mfma_f32_16x16x32_fp8_fp8 v[76:79], a[106:107], v[30:31], v[76:79]// 000000004D70: D3F3004C 0D323D6A
	buffer_load_dwordx4 a[152:155], v229, s[16:19], 0 offen offset:1024// 000000004D78: E05C1400 808498E5
	v_mfma_f32_16x16x32_fp8_fp8 v[80:83], a[122:123], v[30:31], v[80:83]// 000000004D80: D3F30050 0D423D7A
	s_waitcnt lgkmcnt(8)                                       // 000000004D88: BF8CC87F
	v_mfma_f32_16x16x32_fp8_fp8 v[76:79], a[108:109], v[32:33], v[76:79]// 000000004D8C: D3F3004C 0D32416C
	v_mfma_f32_16x16x32_fp8_fp8 v[80:83], a[124:125], v[32:33], v[80:83]// 000000004D94: D3F30050 0D42417C
	v_mfma_f32_16x16x32_fp8_fp8 v[76:79], a[110:111], v[34:35], v[76:79]// 000000004D9C: D3F3004C 0D32456E
	buffer_load_dwordx4 a[156:159], v230, s[16:19], 0 offen offset:1024// 000000004DA4: E05C1400 80849CE6
	v_mfma_f32_16x16x32_fp8_fp8 v[80:83], a[126:127], v[34:35], v[80:83]// 000000004DAC: D3F30050 0D42457E
	s_waitcnt lgkmcnt(7)                                       // 000000004DB4: BF8CC77F
	v_mfma_f32_16x16x32_fp8_fp8 v[84:87], a[96:97], v[36:37], 0// 000000004DB8: D3F30054 0A024960
	v_mfma_f32_16x16x32_fp8_fp8 v[88:91], a[112:113], v[36:37], 0// 000000004DC0: D3F30058 0A024970
	v_mfma_f32_16x16x32_fp8_fp8 v[84:87], a[98:99], v[38:39], v[84:87]// 000000004DC8: D3F30054 0D524D62
	v_mfma_f32_16x16x32_fp8_fp8 v[88:91], a[114:115], v[38:39], v[88:91]// 000000004DD0: D3F30058 0D624D72
	s_waitcnt lgkmcnt(6)                                       // 000000004DD8: BF8CC67F
	v_mfma_f32_16x16x32_fp8_fp8 v[84:87], a[100:101], v[40:41], v[84:87]// 000000004DDC: D3F30054 0D525164
	v_mfma_f32_16x16x32_fp8_fp8 v[88:91], a[116:117], v[40:41], v[88:91]// 000000004DE4: D3F30058 0D625174
	v_mfma_f32_16x16x32_fp8_fp8 v[84:87], a[102:103], v[42:43], v[84:87]// 000000004DEC: D3F30054 0D525566
	v_mfma_f32_16x16x32_fp8_fp8 v[88:91], a[118:119], v[42:43], v[88:91]// 000000004DF4: D3F30058 0D625576
	s_waitcnt lgkmcnt(5)                                       // 000000004DFC: BF8CC57F
	v_mfma_f32_16x16x32_fp8_fp8 v[84:87], a[104:105], v[44:45], v[84:87]// 000000004E00: D3F30054 0D525968
	v_mfma_f32_16x16x32_fp8_fp8 v[88:91], a[120:121], v[44:45], v[88:91]// 000000004E08: D3F30058 0D625978
	v_mfma_f32_16x16x32_fp8_fp8 v[84:87], a[106:107], v[46:47], v[84:87]// 000000004E10: D3F30054 0D525D6A
	v_mfma_f32_16x16x32_fp8_fp8 v[88:91], a[122:123], v[46:47], v[88:91]// 000000004E18: D3F30058 0D625D7A
	s_waitcnt lgkmcnt(4)                                       // 000000004E20: BF8CC47F
	v_mfma_f32_16x16x32_fp8_fp8 v[84:87], a[108:109], v[48:49], v[84:87]// 000000004E24: D3F30054 0D52616C
	v_mfma_f32_16x16x32_fp8_fp8 v[88:91], a[124:125], v[48:49], v[88:91]// 000000004E2C: D3F30058 0D62617C
	v_mfma_f32_16x16x32_fp8_fp8 v[84:87], a[110:111], v[50:51], v[84:87]// 000000004E34: D3F30054 0D52656E
	v_mfma_f32_16x16x32_fp8_fp8 v[88:91], a[126:127], v[50:51], v[88:91]// 000000004E3C: D3F30058 0D62657E
	s_waitcnt lgkmcnt(3)                                       // 000000004E44: BF8CC37F
	v_mfma_f32_16x16x32_fp8_fp8 v[92:95], a[96:97], v[52:53], 0// 000000004E48: D3F3005C 0A026960
	v_mfma_f32_16x16x32_fp8_fp8 v[96:99], a[112:113], v[52:53], 0// 000000004E50: D3F30060 0A026970
	v_mfma_f32_16x16x32_fp8_fp8 v[92:95], a[98:99], v[54:55], v[92:95]// 000000004E58: D3F3005C 0D726D62
	v_mfma_f32_16x16x32_fp8_fp8 v[96:99], a[114:115], v[54:55], v[96:99]// 000000004E60: D3F30060 0D826D72
	s_waitcnt lgkmcnt(2)                                       // 000000004E68: BF8CC27F
	v_mfma_f32_16x16x32_fp8_fp8 v[92:95], a[100:101], v[56:57], v[92:95]// 000000004E6C: D3F3005C 0D727164
	v_mfma_f32_16x16x32_fp8_fp8 v[96:99], a[116:117], v[56:57], v[96:99]// 000000004E74: D3F30060 0D827174
	v_mfma_f32_16x16x32_fp8_fp8 v[92:95], a[102:103], v[58:59], v[92:95]// 000000004E7C: D3F3005C 0D727566
	v_mfma_f32_16x16x32_fp8_fp8 v[96:99], a[118:119], v[58:59], v[96:99]// 000000004E84: D3F30060 0D827576
	s_waitcnt lgkmcnt(1)                                       // 000000004E8C: BF8CC17F
	v_mfma_f32_16x16x32_fp8_fp8 v[92:95], a[104:105], v[60:61], v[92:95]// 000000004E90: D3F3005C 0D727968
	v_mfma_f32_16x16x32_fp8_fp8 v[96:99], a[120:121], v[60:61], v[96:99]// 000000004E98: D3F30060 0D827978
	v_mfma_f32_16x16x32_fp8_fp8 v[92:95], a[106:107], v[62:63], v[92:95]// 000000004EA0: D3F3005C 0D727D6A
	v_mfma_f32_16x16x32_fp8_fp8 v[96:99], a[122:123], v[62:63], v[96:99]// 000000004EA8: D3F30060 0D827D7A
	s_waitcnt lgkmcnt(0)                                       // 000000004EB0: BF8CC07F
	v_mfma_f32_16x16x32_fp8_fp8 v[92:95], a[108:109], v[64:65], v[92:95]// 000000004EB4: D3F3005C 0D72816C
	v_mfma_f32_16x16x32_fp8_fp8 v[96:99], a[124:125], v[64:65], v[96:99]// 000000004EBC: D3F30060 0D82817C
	v_mfma_f32_16x16x32_fp8_fp8 v[92:95], a[110:111], v[66:67], v[92:95]// 000000004EC4: D3F3005C 0D72856E
	v_mfma_f32_16x16x32_fp8_fp8 v[96:99], a[126:127], v[66:67], v[96:99]// 000000004ECC: D3F30060 0D82857E
	s_load_dword s59, s[42:43], s68                            // 000000004ED4: C0000ED5 00000044
	s_addk_i32 s64, 0x100                                      // 000000004EDC: B7400100
	s_cmp_lt_i32 s64, s63                                      // 000000004EE0: BF043F40
	s_cbranch_scc0 label_38F6                                  // 000000004EE4: BF842EBC
	s_waitcnt vmcnt(10)                                        // 000000004EE8: BF8C0F7A
	v_mfma_f32_16x16x32_fp8_fp8 v[4:7], a[64:65], a[0:1], 0    // 000000004EEC: D3F30004 1A020140
	s_add_u32 s12, s86, s69                                    // 000000004EF4: 800C4556
	s_addc_u32 s13, s87, 0                                     // 000000004EF8: 820D8057
	v_mfma_f32_16x16x32_fp8_fp8 v[4:7], a[66:67], a[2:3], v[4:7]// 000000004EFC: D3F30004 1C120542
	s_add_u32 s16, s88, s70                                    // 000000004F04: 80104658
	s_addc_u32 s17, s89, 0                                     // 000000004F08: 82118059
	v_mfma_f32_16x16x32_fp8_fp8 v[4:7], a[68:69], a[4:5], v[4:7]// 000000004F0C: D3F30004 1C120944
	buffer_load_dwordx4 a[32:35], v225, s[12:15], 0 offen      // 000000004F14: E05C1000 808320E1
	v_mfma_f32_16x16x32_fp8_fp8 v[4:7], a[70:71], a[6:7], v[4:7]// 000000004F1C: D3F30004 1C120D46
	s_add_u32 s20, s90, s71                                    // 000000004F24: 8014475A
	s_addc_u32 s21, s91, 0                                     // 000000004F28: 8215805B
	v_mfma_f32_16x16x32_fp8_fp8 v[8:11], a[72:73], a[0:1], 0   // 000000004F2C: D3F30008 1A020148
	s_add_u32 s24, s92, s71                                    // 000000004F34: 8018475C
	s_addc_u32 s25, s93, 0                                     // 000000004F38: 8219805D
	v_mfma_f32_16x16x32_fp8_fp8 v[8:11], a[74:75], a[2:3], v[8:11]// 000000004F3C: D3F30008 1C22054A
	s_add_u32 s69, s69, 0x1000                                 // 000000004F44: 8045FF45 00001000
	s_add_u32 s70, s70, 0x8000                                 // 000000004F4C: 8046FF46 00008000
	v_mfma_f32_16x16x32_fp8_fp8 v[8:11], a[76:77], a[4:5], v[8:11]// 000000004F54: D3F30008 1C22094C
	buffer_load_dwordx4 a[36:39], v226, s[12:15], 0 offen      // 000000004F5C: E05C1000 808324E2
	v_mfma_f32_16x16x32_fp8_fp8 v[8:11], a[78:79], a[6:7], v[8:11]// 000000004F64: D3F30008 1C220D4E
	v_mfma_f32_16x16x32_fp8_fp8 v[12:15], a[80:81], a[0:1], 0  // 000000004F6C: D3F3000C 1A020150
	v_mfma_f32_16x16x32_fp8_fp8 v[12:15], a[82:83], a[2:3], v[12:15]// 000000004F74: D3F3000C 1C320552
	v_mfma_f32_16x16x32_fp8_fp8 v[12:15], a[84:85], a[4:5], v[12:15]// 000000004F7C: D3F3000C 1C320954
	buffer_load_dwordx4 a[40:43], v225, s[12:15], 0 offen offset:1024// 000000004F84: E05C1400 808328E1
	v_mfma_f32_16x16x32_fp8_fp8 v[12:15], a[86:87], a[6:7], v[12:15]// 000000004F8C: D3F3000C 1C320D56
	v_mfma_f32_16x16x32_fp8_fp8 v[16:19], a[88:89], a[0:1], 0  // 000000004F94: D3F30010 1A020158
	v_mfma_f32_16x16x32_fp8_fp8 v[16:19], a[90:91], a[2:3], v[16:19]// 000000004F9C: D3F30010 1C42055A
	v_mfma_f32_16x16x32_fp8_fp8 v[16:19], a[92:93], a[4:5], v[16:19]// 000000004FA4: D3F30010 1C42095C
	buffer_load_dwordx4 a[44:47], v226, s[12:15], 0 offen offset:1024// 000000004FAC: E05C1400 80832CE2
	v_mfma_f32_16x16x32_fp8_fp8 v[16:19], a[94:95], a[6:7], v[16:19]// 000000004FB4: D3F30010 1C420D5E
	v_mfma_f32_16x16x32_fp8_fp8 v[20:23], a[64:65], a[8:9], 0  // 000000004FBC: D3F30014 1A021140
	v_mfma_f32_16x16x32_fp8_fp8 v[20:23], a[66:67], a[10:11], v[20:23]// 000000004FC4: D3F30014 1C521542
	v_mfma_f32_16x16x32_fp8_fp8 v[20:23], a[68:69], a[12:13], v[20:23]// 000000004FCC: D3F30014 1C521944
	buffer_load_dwordx4 a[48:51], v225, s[12:15], 0 offen offset:2048// 000000004FD4: E05C1800 808330E1
	v_mfma_f32_16x16x32_fp8_fp8 v[20:23], a[70:71], a[14:15], v[20:23]// 000000004FDC: D3F30014 1C521D46
	v_mfma_f32_16x16x32_fp8_fp8 v[24:27], a[72:73], a[8:9], 0  // 000000004FE4: D3F30018 1A021148
	v_mfma_f32_16x16x32_fp8_fp8 v[24:27], a[74:75], a[10:11], v[24:27]// 000000004FEC: D3F30018 1C62154A
	v_mfma_f32_16x16x32_fp8_fp8 v[24:27], a[76:77], a[12:13], v[24:27]// 000000004FF4: D3F30018 1C62194C
	buffer_load_dwordx4 a[52:55], v226, s[12:15], 0 offen offset:2048// 000000004FFC: E05C1800 808334E2
	v_mfma_f32_16x16x32_fp8_fp8 v[24:27], a[78:79], a[14:15], v[24:27]// 000000005004: D3F30018 1C621D4E
	v_mfma_f32_16x16x32_fp8_fp8 v[28:31], a[80:81], a[8:9], 0  // 00000000500C: D3F3001C 1A021150
	v_mfma_f32_16x16x32_fp8_fp8 v[28:31], a[82:83], a[10:11], v[28:31]// 000000005014: D3F3001C 1C721552
	v_mfma_f32_16x16x32_fp8_fp8 v[28:31], a[84:85], a[12:13], v[28:31]// 00000000501C: D3F3001C 1C721954
	buffer_load_dwordx4 a[56:59], v225, s[12:15], 0 offen offset:3072// 000000005024: E05C1C00 808338E1
	v_mfma_f32_16x16x32_fp8_fp8 v[28:31], a[86:87], a[14:15], v[28:31]// 00000000502C: D3F3001C 1C721D56
	v_mfma_f32_16x16x32_fp8_fp8 v[32:35], a[88:89], a[8:9], 0  // 000000005034: D3F30020 1A021158
	v_mfma_f32_16x16x32_fp8_fp8 v[32:35], a[90:91], a[10:11], v[32:35]// 00000000503C: D3F30020 1C82155A
	v_mfma_f32_16x16x32_fp8_fp8 v[32:35], a[92:93], a[12:13], v[32:35]// 000000005044: D3F30020 1C82195C
	buffer_load_dwordx4 a[60:63], v226, s[12:15], 0 offen offset:3072// 00000000504C: E05C1C00 80833CE2
	v_mfma_f32_16x16x32_fp8_fp8 v[32:35], a[94:95], a[14:15], v[32:35]// 000000005054: D3F30020 1C821D5E
	v_mfma_f32_16x16x32_fp8_fp8 v[36:39], a[64:65], a[16:17], 0// 00000000505C: D3F30024 1A022140
	v_mfma_f32_16x16x32_fp8_fp8 v[36:39], a[66:67], a[18:19], v[36:39]// 000000005064: D3F30024 1C922542
	v_mfma_f32_16x16x32_fp8_fp8 v[36:39], a[68:69], a[20:21], v[36:39]// 00000000506C: D3F30024 1C922944
	v_mfma_f32_16x16x32_fp8_fp8 v[36:39], a[70:71], a[22:23], v[36:39]// 000000005074: D3F30024 1C922D46
	v_mfma_f32_16x16x32_fp8_fp8 v[40:43], a[72:73], a[16:17], 0// 00000000507C: D3F30028 1A022148
	v_mfma_f32_16x16x32_fp8_fp8 v[40:43], a[74:75], a[18:19], v[40:43]// 000000005084: D3F30028 1CA2254A
	v_mfma_f32_16x16x32_fp8_fp8 v[40:43], a[76:77], a[20:21], v[40:43]// 00000000508C: D3F30028 1CA2294C
	v_mfma_f32_16x16x32_fp8_fp8 v[40:43], a[78:79], a[22:23], v[40:43]// 000000005094: D3F30028 1CA22D4E
	v_mfma_f32_16x16x32_fp8_fp8 v[44:47], a[80:81], a[16:17], 0// 00000000509C: D3F3002C 1A022150
	v_mfma_f32_16x16x32_fp8_fp8 v[44:47], a[82:83], a[18:19], v[44:47]// 0000000050A4: D3F3002C 1CB22552
	v_mfma_f32_16x16x32_fp8_fp8 v[44:47], a[84:85], a[20:21], v[44:47]// 0000000050AC: D3F3002C 1CB22954
	v_mfma_f32_16x16x32_fp8_fp8 v[44:47], a[86:87], a[22:23], v[44:47]// 0000000050B4: D3F3002C 1CB22D56
	v_mfma_f32_16x16x32_fp8_fp8 v[48:51], a[88:89], a[16:17], 0// 0000000050BC: D3F30030 1A022158
	v_mfma_f32_16x16x32_fp8_fp8 v[48:51], a[90:91], a[18:19], v[48:51]// 0000000050C4: D3F30030 1CC2255A
	v_mfma_f32_16x16x32_fp8_fp8 v[48:51], a[92:93], a[20:21], v[48:51]// 0000000050CC: D3F30030 1CC2295C
	v_mfma_f32_16x16x32_fp8_fp8 v[48:51], a[94:95], a[22:23], v[48:51]// 0000000050D4: D3F30030 1CC22D5E
	v_mfma_f32_16x16x32_fp8_fp8 v[52:55], a[64:65], a[24:25], 0// 0000000050DC: D3F30034 1A023140
	v_mfma_f32_16x16x32_fp8_fp8 v[52:55], a[66:67], a[26:27], v[52:55]// 0000000050E4: D3F30034 1CD23542
	v_mfma_f32_16x16x32_fp8_fp8 v[52:55], a[68:69], a[28:29], v[52:55]// 0000000050EC: D3F30034 1CD23944
	v_mfma_f32_16x16x32_fp8_fp8 v[52:55], a[70:71], a[30:31], v[52:55]// 0000000050F4: D3F30034 1CD23D46
	v_mfma_f32_16x16x32_fp8_fp8 v[56:59], a[72:73], a[24:25], 0// 0000000050FC: D3F30038 1A023148
	v_mfma_f32_16x16x32_fp8_fp8 v[56:59], a[74:75], a[26:27], v[56:59]// 000000005104: D3F30038 1CE2354A
	v_mfma_f32_16x16x32_fp8_fp8 v[56:59], a[76:77], a[28:29], v[56:59]// 00000000510C: D3F30038 1CE2394C
	v_mfma_f32_16x16x32_fp8_fp8 v[56:59], a[78:79], a[30:31], v[56:59]// 000000005114: D3F30038 1CE23D4E
	v_mfma_f32_16x16x32_fp8_fp8 v[60:63], a[80:81], a[24:25], 0// 00000000511C: D3F3003C 1A023150
	v_mfma_f32_16x16x32_fp8_fp8 v[60:63], a[82:83], a[26:27], v[60:63]// 000000005124: D3F3003C 1CF23552
	v_mfma_f32_16x16x32_fp8_fp8 v[60:63], a[84:85], a[28:29], v[60:63]// 00000000512C: D3F3003C 1CF23954
	v_mfma_f32_16x16x32_fp8_fp8 v[60:63], a[86:87], a[30:31], v[60:63]// 000000005134: D3F3003C 1CF23D56
	v_mfma_f32_16x16x32_fp8_fp8 v[64:67], a[88:89], a[24:25], 0// 00000000513C: D3F30040 1A023158
	v_mfma_f32_16x16x32_fp8_fp8 v[64:67], a[90:91], a[26:27], v[64:67]// 000000005144: D3F30040 1D02355A
	v_mfma_f32_16x16x32_fp8_fp8 v[64:67], a[92:93], a[28:29], v[64:67]// 00000000514C: D3F30040 1D02395C
	v_mfma_f32_16x16x32_fp8_fp8 v[64:67], a[94:95], a[30:31], v[64:67]// 000000005154: D3F30040 1D023D5E
	s_waitcnt vmcnt(16)                                        // 00000000515C: BF8C4F70
	v_pk_mul_f32 v[4:5], v[132:133], v[4:5]                    // 000000005160: D3B14004 18020984
	v_pk_mul_f32 v[6:7], v[132:133], v[6:7]                    // 000000005168: D3B14006 18020D84
	v_mul_f32_dpp v4, v141, v4 row_newbcast:0 row_mask:0xf bank_mask:0xf// 000000005170: 0A0808FA FF01508D
	v_mul_f32_dpp v5, v141, v5 row_newbcast:1 row_mask:0xf bank_mask:0xf// 000000005178: 0A0A0AFA FF01518D
	v_mul_f32_dpp v6, v141, v6 row_newbcast:2 row_mask:0xf bank_mask:0xf// 000000005180: 0A0C0CFA FF01528D
	v_mul_f32_dpp v7, v141, v7 row_newbcast:3 row_mask:0xf bank_mask:0xf// 000000005188: 0A0E0EFA FF01538D
	v_pk_mul_f32 v[8:9], v[132:133], v[8:9]                    // 000000005190: D3B14008 18021184
	v_pk_mul_f32 v[10:11], v[132:133], v[10:11]                // 000000005198: D3B1400A 18021584
	v_mul_f32_dpp v8, v141, v8 row_newbcast:4 row_mask:0xf bank_mask:0xf// 0000000051A0: 0A1010FA FF01548D
	v_mul_f32_dpp v9, v141, v9 row_newbcast:5 row_mask:0xf bank_mask:0xf// 0000000051A8: 0A1212FA FF01558D
	v_mul_f32_dpp v10, v141, v10 row_newbcast:6 row_mask:0xf bank_mask:0xf// 0000000051B0: 0A1414FA FF01568D
	v_mul_f32_dpp v11, v141, v11 row_newbcast:7 row_mask:0xf bank_mask:0xf// 0000000051B8: 0A1616FA FF01578D
	v_pk_mul_f32 v[12:13], v[132:133], v[12:13]                // 0000000051C0: D3B1400C 18021984
	v_pk_mul_f32 v[14:15], v[132:133], v[14:15]                // 0000000051C8: D3B1400E 18021D84
	v_mul_f32_dpp v12, v141, v12 row_newbcast:8 row_mask:0xf bank_mask:0xf// 0000000051D0: 0A1818FA FF01588D
	v_mul_f32_dpp v13, v141, v13 row_newbcast:9 row_mask:0xf bank_mask:0xf// 0000000051D8: 0A1A1AFA FF01598D
	v_mul_f32_dpp v14, v141, v14 row_newbcast:10 row_mask:0xf bank_mask:0xf// 0000000051E0: 0A1C1CFA FF015A8D
	v_mul_f32_dpp v15, v141, v15 row_newbcast:11 row_mask:0xf bank_mask:0xf// 0000000051E8: 0A1E1EFA FF015B8D
	v_pk_mul_f32 v[16:17], v[132:133], v[16:17]                // 0000000051F0: D3B14010 18022184
	v_pk_mul_f32 v[18:19], v[132:133], v[18:19]                // 0000000051F8: D3B14012 18022584
	v_mul_f32_dpp v16, v141, v16 row_newbcast:12 row_mask:0xf bank_mask:0xf// 000000005200: 0A2020FA FF015C8D
	v_mul_f32_dpp v17, v141, v17 row_newbcast:13 row_mask:0xf bank_mask:0xf// 000000005208: 0A2222FA FF015D8D
	v_mul_f32_dpp v18, v141, v18 row_newbcast:14 row_mask:0xf bank_mask:0xf// 000000005210: 0A2424FA FF015E8D
	v_mul_f32_dpp v19, v141, v19 row_newbcast:15 row_mask:0xf bank_mask:0xf// 000000005218: 0A2626FA FF015F8D
	v_pk_mul_f32 v[20:21], v[134:135], v[20:21]                // 000000005220: D3B14014 18022986
	v_pk_mul_f32 v[22:23], v[134:135], v[22:23]                // 000000005228: D3B14016 18022D86
	v_mul_f32_dpp v20, v141, v20 row_newbcast:0 row_mask:0xf bank_mask:0xf// 000000005230: 0A2828FA FF01508D
	v_mul_f32_dpp v21, v141, v21 row_newbcast:1 row_mask:0xf bank_mask:0xf// 000000005238: 0A2A2AFA FF01518D
	v_mul_f32_dpp v22, v141, v22 row_newbcast:2 row_mask:0xf bank_mask:0xf// 000000005240: 0A2C2CFA FF01528D
	v_mul_f32_dpp v23, v141, v23 row_newbcast:3 row_mask:0xf bank_mask:0xf// 000000005248: 0A2E2EFA FF01538D
	v_pk_mul_f32 v[24:25], v[134:135], v[24:25]                // 000000005250: D3B14018 18023186
	v_pk_mul_f32 v[26:27], v[134:135], v[26:27]                // 000000005258: D3B1401A 18023586
	v_mul_f32_dpp v24, v141, v24 row_newbcast:4 row_mask:0xf bank_mask:0xf// 000000005260: 0A3030FA FF01548D
	v_mul_f32_dpp v25, v141, v25 row_newbcast:5 row_mask:0xf bank_mask:0xf// 000000005268: 0A3232FA FF01558D
	v_mul_f32_dpp v26, v141, v26 row_newbcast:6 row_mask:0xf bank_mask:0xf// 000000005270: 0A3434FA FF01568D
	v_mul_f32_dpp v27, v141, v27 row_newbcast:7 row_mask:0xf bank_mask:0xf// 000000005278: 0A3636FA FF01578D
	v_pk_mul_f32 v[28:29], v[134:135], v[28:29]                // 000000005280: D3B1401C 18023986
	v_pk_mul_f32 v[30:31], v[134:135], v[30:31]                // 000000005288: D3B1401E 18023D86
	v_mul_f32_dpp v28, v141, v28 row_newbcast:8 row_mask:0xf bank_mask:0xf// 000000005290: 0A3838FA FF01588D
	v_mul_f32_dpp v29, v141, v29 row_newbcast:9 row_mask:0xf bank_mask:0xf// 000000005298: 0A3A3AFA FF01598D
	v_mul_f32_dpp v30, v141, v30 row_newbcast:10 row_mask:0xf bank_mask:0xf// 0000000052A0: 0A3C3CFA FF015A8D
	v_mul_f32_dpp v31, v141, v31 row_newbcast:11 row_mask:0xf bank_mask:0xf// 0000000052A8: 0A3E3EFA FF015B8D
	v_pk_mul_f32 v[32:33], v[134:135], v[32:33]                // 0000000052B0: D3B14020 18024186
	v_pk_mul_f32 v[34:35], v[134:135], v[34:35]                // 0000000052B8: D3B14022 18024586
	v_mul_f32_dpp v32, v141, v32 row_newbcast:12 row_mask:0xf bank_mask:0xf// 0000000052C0: 0A4040FA FF015C8D
	v_mul_f32_dpp v33, v141, v33 row_newbcast:13 row_mask:0xf bank_mask:0xf// 0000000052C8: 0A4242FA FF015D8D
	v_mul_f32_dpp v34, v141, v34 row_newbcast:14 row_mask:0xf bank_mask:0xf// 0000000052D0: 0A4444FA FF015E8D
	v_mul_f32_dpp v35, v141, v35 row_newbcast:15 row_mask:0xf bank_mask:0xf// 0000000052D8: 0A4646FA FF015F8D
	v_pk_mul_f32 v[36:37], v[136:137], v[36:37]                // 0000000052E0: D3B14024 18024988
	v_pk_mul_f32 v[38:39], v[136:137], v[38:39]                // 0000000052E8: D3B14026 18024D88
	v_mul_f32_dpp v36, v141, v36 row_newbcast:0 row_mask:0xf bank_mask:0xf// 0000000052F0: 0A4848FA FF01508D
	v_mul_f32_dpp v37, v141, v37 row_newbcast:1 row_mask:0xf bank_mask:0xf// 0000000052F8: 0A4A4AFA FF01518D
	v_mul_f32_dpp v38, v141, v38 row_newbcast:2 row_mask:0xf bank_mask:0xf// 000000005300: 0A4C4CFA FF01528D
	v_mul_f32_dpp v39, v141, v39 row_newbcast:3 row_mask:0xf bank_mask:0xf// 000000005308: 0A4E4EFA FF01538D
	v_pk_mul_f32 v[40:41], v[136:137], v[40:41]                // 000000005310: D3B14028 18025188
	v_pk_mul_f32 v[42:43], v[136:137], v[42:43]                // 000000005318: D3B1402A 18025588
	v_mul_f32_dpp v40, v141, v40 row_newbcast:4 row_mask:0xf bank_mask:0xf// 000000005320: 0A5050FA FF01548D
	v_mul_f32_dpp v41, v141, v41 row_newbcast:5 row_mask:0xf bank_mask:0xf// 000000005328: 0A5252FA FF01558D
	v_mul_f32_dpp v42, v141, v42 row_newbcast:6 row_mask:0xf bank_mask:0xf// 000000005330: 0A5454FA FF01568D
	v_mul_f32_dpp v43, v141, v43 row_newbcast:7 row_mask:0xf bank_mask:0xf// 000000005338: 0A5656FA FF01578D
	v_pk_mul_f32 v[44:45], v[136:137], v[44:45]                // 000000005340: D3B1402C 18025988
	v_pk_mul_f32 v[46:47], v[136:137], v[46:47]                // 000000005348: D3B1402E 18025D88
	v_mul_f32_dpp v44, v141, v44 row_newbcast:8 row_mask:0xf bank_mask:0xf// 000000005350: 0A5858FA FF01588D
	v_mul_f32_dpp v45, v141, v45 row_newbcast:9 row_mask:0xf bank_mask:0xf// 000000005358: 0A5A5AFA FF01598D
	v_mul_f32_dpp v46, v141, v46 row_newbcast:10 row_mask:0xf bank_mask:0xf// 000000005360: 0A5C5CFA FF015A8D
	v_mul_f32_dpp v47, v141, v47 row_newbcast:11 row_mask:0xf bank_mask:0xf// 000000005368: 0A5E5EFA FF015B8D
	v_pk_mul_f32 v[48:49], v[136:137], v[48:49]                // 000000005370: D3B14030 18026188
	v_pk_mul_f32 v[50:51], v[136:137], v[50:51]                // 000000005378: D3B14032 18026588
	v_mul_f32_dpp v48, v141, v48 row_newbcast:12 row_mask:0xf bank_mask:0xf// 000000005380: 0A6060FA FF015C8D
	v_mul_f32_dpp v49, v141, v49 row_newbcast:13 row_mask:0xf bank_mask:0xf// 000000005388: 0A6262FA FF015D8D
	v_mul_f32_dpp v50, v141, v50 row_newbcast:14 row_mask:0xf bank_mask:0xf// 000000005390: 0A6464FA FF015E8D
	v_mul_f32_dpp v51, v141, v51 row_newbcast:15 row_mask:0xf bank_mask:0xf// 000000005398: 0A6666FA FF015F8D
	v_pk_mul_f32 v[52:53], v[138:139], v[52:53]                // 0000000053A0: D3B14034 1802698A
	v_pk_mul_f32 v[54:55], v[138:139], v[54:55]                // 0000000053A8: D3B14036 18026D8A
	v_mul_f32_dpp v52, v141, v52 row_newbcast:0 row_mask:0xf bank_mask:0xf// 0000000053B0: 0A6868FA FF01508D
	v_mul_f32_dpp v53, v141, v53 row_newbcast:1 row_mask:0xf bank_mask:0xf// 0000000053B8: 0A6A6AFA FF01518D
	v_mul_f32_dpp v54, v141, v54 row_newbcast:2 row_mask:0xf bank_mask:0xf// 0000000053C0: 0A6C6CFA FF01528D
	v_mul_f32_dpp v55, v141, v55 row_newbcast:3 row_mask:0xf bank_mask:0xf// 0000000053C8: 0A6E6EFA FF01538D
	v_pk_mul_f32 v[56:57], v[138:139], v[56:57]                // 0000000053D0: D3B14038 1802718A
	v_pk_mul_f32 v[58:59], v[138:139], v[58:59]                // 0000000053D8: D3B1403A 1802758A
	v_mul_f32_dpp v56, v141, v56 row_newbcast:4 row_mask:0xf bank_mask:0xf// 0000000053E0: 0A7070FA FF01548D
	v_mul_f32_dpp v57, v141, v57 row_newbcast:5 row_mask:0xf bank_mask:0xf// 0000000053E8: 0A7272FA FF01558D
	v_mul_f32_dpp v58, v141, v58 row_newbcast:6 row_mask:0xf bank_mask:0xf// 0000000053F0: 0A7474FA FF01568D
	v_mul_f32_dpp v59, v141, v59 row_newbcast:7 row_mask:0xf bank_mask:0xf// 0000000053F8: 0A7676FA FF01578D
	v_pk_mul_f32 v[60:61], v[138:139], v[60:61]                // 000000005400: D3B1403C 1802798A
	v_pk_mul_f32 v[62:63], v[138:139], v[62:63]                // 000000005408: D3B1403E 18027D8A
	v_mul_f32_dpp v60, v141, v60 row_newbcast:8 row_mask:0xf bank_mask:0xf// 000000005410: 0A7878FA FF01588D
	v_mul_f32_dpp v61, v141, v61 row_newbcast:9 row_mask:0xf bank_mask:0xf// 000000005418: 0A7A7AFA FF01598D
	v_mul_f32_dpp v62, v141, v62 row_newbcast:10 row_mask:0xf bank_mask:0xf// 000000005420: 0A7C7CFA FF015A8D
	v_mul_f32_dpp v63, v141, v63 row_newbcast:11 row_mask:0xf bank_mask:0xf// 000000005428: 0A7E7EFA FF015B8D
	v_pk_mul_f32 v[64:65], v[138:139], v[64:65]                // 000000005430: D3B14040 1802818A
	v_pk_mul_f32 v[66:67], v[138:139], v[66:67]                // 000000005438: D3B14042 1802858A
	v_mul_f32_dpp v64, v141, v64 row_newbcast:12 row_mask:0xf bank_mask:0xf// 000000005440: 0A8080FA FF015C8D
	v_mul_f32_dpp v65, v141, v65 row_newbcast:13 row_mask:0xf bank_mask:0xf// 000000005448: 0A8282FA FF015D8D
	v_mul_f32_dpp v66, v141, v66 row_newbcast:14 row_mask:0xf bank_mask:0xf// 000000005450: 0A8484FA FF015E8D
	v_mul_f32_dpp v67, v141, v67 row_newbcast:15 row_mask:0xf bank_mask:0xf// 000000005458: 0A8686FA FF015F8D
	v_mov_b32_e32 v176, v4                                     // 000000005460: 7F600304
	v_max3_f32 v176, v4, v5, v176                              // 000000005464: D1D300B0 06C20B04
	v_max3_f32 v176, v6, v7, v176                              // 00000000546C: D1D300B0 06C20F06
	v_max3_f32 v176, v8, v9, v176                              // 000000005474: D1D300B0 06C21308
	v_max3_f32 v176, v10, v11, v176                            // 00000000547C: D1D300B0 06C2170A
	v_max3_f32 v176, v12, v13, v176                            // 000000005484: D1D300B0 06C21B0C
	v_max3_f32 v176, v14, v15, v176                            // 00000000548C: D1D300B0 06C21F0E
	v_max3_f32 v176, v16, v17, v176                            // 000000005494: D1D300B0 06C22310
	v_max3_f32 v176, v18, v19, v176                            // 00000000549C: D1D300B0 06C22712
	v_mov_b32_e32 v177, v20                                    // 0000000054A4: 7F620314
	v_max3_f32 v177, v20, v21, v177                            // 0000000054A8: D1D300B1 06C62B14
	v_max3_f32 v177, v22, v23, v177                            // 0000000054B0: D1D300B1 06C62F16
	v_max3_f32 v177, v24, v25, v177                            // 0000000054B8: D1D300B1 06C63318
	v_max3_f32 v177, v26, v27, v177                            // 0000000054C0: D1D300B1 06C6371A
	v_max3_f32 v177, v28, v29, v177                            // 0000000054C8: D1D300B1 06C63B1C
	v_max3_f32 v177, v30, v31, v177                            // 0000000054D0: D1D300B1 06C63F1E
	v_max3_f32 v177, v32, v33, v177                            // 0000000054D8: D1D300B1 06C64320
	v_max3_f32 v177, v34, v35, v177                            // 0000000054E0: D1D300B1 06C64722
	v_mov_b32_e32 v178, v36                                    // 0000000054E8: 7F640324
	v_max3_f32 v178, v36, v37, v178                            // 0000000054EC: D1D300B2 06CA4B24
	v_max3_f32 v178, v38, v39, v178                            // 0000000054F4: D1D300B2 06CA4F26
	v_max3_f32 v178, v40, v41, v178                            // 0000000054FC: D1D300B2 06CA5328
	v_max3_f32 v178, v42, v43, v178                            // 000000005504: D1D300B2 06CA572A
	v_max3_f32 v178, v44, v45, v178                            // 00000000550C: D1D300B2 06CA5B2C
	v_max3_f32 v178, v46, v47, v178                            // 000000005514: D1D300B2 06CA5F2E
	v_max3_f32 v178, v48, v49, v178                            // 00000000551C: D1D300B2 06CA6330
	v_max3_f32 v178, v50, v51, v178                            // 000000005524: D1D300B2 06CA6732
	v_mov_b32_e32 v179, v52                                    // 00000000552C: 7F660334
	v_max3_f32 v179, v52, v53, v179                            // 000000005530: D1D300B3 06CE6B34
	v_max3_f32 v179, v54, v55, v179                            // 000000005538: D1D300B3 06CE6F36
	v_max3_f32 v179, v56, v57, v179                            // 000000005540: D1D300B3 06CE7338
	v_max3_f32 v179, v58, v59, v179                            // 000000005548: D1D300B3 06CE773A
	v_max3_f32 v179, v60, v61, v179                            // 000000005550: D1D300B3 06CE7B3C
	v_max3_f32 v179, v62, v63, v179                            // 000000005558: D1D300B3 06CE7F3E
	v_max3_f32 v179, v64, v65, v179                            // 000000005560: D1D300B3 06CE8340
	v_max3_f32 v179, v66, v67, v179                            // 000000005568: D1D300B3 06CE8742
	ds_bpermute_b32 v180, v200, v176                           // 000000005570: D87E0000 B400B0C8
	ds_bpermute_b32 v181, v201, v176                           // 000000005578: D87E0000 B500B0C9
	ds_bpermute_b32 v182, v202, v176                           // 000000005580: D87E0000 B600B0CA
	ds_bpermute_b32 v183, v200, v177                           // 000000005588: D87E0000 B700B1C8
	ds_bpermute_b32 v184, v201, v177                           // 000000005590: D87E0000 B800B1C9
	ds_bpermute_b32 v185, v202, v177                           // 000000005598: D87E0000 B900B1CA
	ds_bpermute_b32 v186, v200, v178                           // 0000000055A0: D87E0000 BA00B2C8
	ds_bpermute_b32 v187, v201, v178                           // 0000000055A8: D87E0000 BB00B2C9
	ds_bpermute_b32 v188, v202, v178                           // 0000000055B0: D87E0000 BC00B2CA
	ds_bpermute_b32 v189, v200, v179                           // 0000000055B8: D87E0000 BD00B3C8
	ds_bpermute_b32 v190, v201, v179                           // 0000000055C0: D87E0000 BE00B3C9
	ds_bpermute_b32 v191, v202, v179                           // 0000000055C8: D87E0000 BF00B3CA
	v_pk_mul_f32 v[100:101], v[160:161], v[100:101]            // 0000000055D0: D3B14064 1802C9A0
	v_pk_mul_f32 v[102:103], v[160:161], v[102:103]            // 0000000055D8: D3B14066 1802CDA0
	v_pk_mul_f32 v[104:105], v[160:161], v[104:105]            // 0000000055E0: D3B14068 1802D1A0
	v_pk_mul_f32 v[106:107], v[160:161], v[106:107]            // 0000000055E8: D3B1406A 1802D5A0
	v_pk_mul_f32 v[108:109], v[162:163], v[108:109]            // 0000000055F0: D3B1406C 1802D9A2
	v_pk_mul_f32 v[110:111], v[162:163], v[110:111]            // 0000000055F8: D3B1406E 1802DDA2
	v_pk_mul_f32 v[112:113], v[162:163], v[112:113]            // 000000005600: D3B14070 1802E1A2
	v_pk_mul_f32 v[114:115], v[162:163], v[114:115]            // 000000005608: D3B14072 1802E5A2
	v_pk_mul_f32 v[116:117], v[164:165], v[116:117]            // 000000005610: D3B14074 1802E9A4
	v_pk_mul_f32 v[118:119], v[164:165], v[118:119]            // 000000005618: D3B14076 1802EDA4
	v_pk_mul_f32 v[120:121], v[164:165], v[120:121]            // 000000005620: D3B14078 1802F1A4
	v_pk_mul_f32 v[122:123], v[164:165], v[122:123]            // 000000005628: D3B1407A 1802F5A4
	v_pk_mul_f32 v[124:125], v[166:167], v[124:125]            // 000000005630: D3B1407C 1802F9A6
	v_pk_mul_f32 v[126:127], v[166:167], v[126:127]            // 000000005638: D3B1407E 1802FDA6
	v_pk_mul_f32 v[128:129], v[166:167], v[128:129]            // 000000005640: D3B14080 180301A6
	v_pk_mul_f32 v[130:131], v[166:167], v[130:131]            // 000000005648: D3B14082 180305A6
	s_waitcnt lgkmcnt(9)                                       // 000000005650: BF8CC97F
	v_max3_f32 v176, v180, v181, v176                          // 000000005654: D1D300B0 06C36BB4
	v_max_f32_e32 v176, v182, v176                             // 00000000565C: 176161B6
	s_waitcnt lgkmcnt(6)                                       // 000000005660: BF8CC67F
	v_max3_f32 v177, v183, v184, v177                          // 000000005664: D1D300B1 06C771B7
	v_max_f32_e32 v177, v185, v177                             // 00000000566C: 176363B9
	s_waitcnt lgkmcnt(3)                                       // 000000005670: BF8CC37F
	v_max3_f32 v178, v186, v187, v178                          // 000000005674: D1D300B2 06CB77BA
	v_max_f32_e32 v178, v188, v178                             // 00000000567C: 176565BC
	s_waitcnt lgkmcnt(0)                                       // 000000005680: BF8CC07F
	v_max3_f32 v179, v189, v190, v179                          // 000000005684: D1D300B3 06CF7DBD
	v_max_f32_e32 v179, v191, v179                             // 00000000568C: 176767BF
	ds_write_b128 v247, v[176:179]                             // 000000005690: D9BE0000 0000B0F7
	s_waitcnt lgkmcnt(0)                                       // 000000005698: BF8CC07F
	s_barrier                                                  // 00000000569C: BF8A0000
	ds_read_b128 v[180:183], v248                              // 0000000056A0: D9FE0000 B40000F8
	ds_read_b128 v[184:187], v248 offset:256                   // 0000000056A8: D9FE0100 B80000F8
	ds_read_b128 v[188:191], v248 offset:512                   // 0000000056B0: D9FE0200 BC0000F8
	ds_read_b128 v[192:195], v248 offset:768                   // 0000000056B8: D9FE0300 C00000F8
	v_pk_mul_f32 v[68:69], v[144:145], v[68:69]                // 0000000056C0: D3B14044 18028990
	v_pk_mul_f32 v[70:71], v[144:145], v[70:71]                // 0000000056C8: D3B14046 18028D90
	v_pk_mul_f32 v[72:73], v[144:145], v[72:73]                // 0000000056D0: D3B14048 18029190
	v_pk_mul_f32 v[74:75], v[144:145], v[74:75]                // 0000000056D8: D3B1404A 18029590
	v_pk_mul_f32 v[76:77], v[146:147], v[76:77]                // 0000000056E0: D3B1404C 18029992
	v_pk_mul_f32 v[78:79], v[146:147], v[78:79]                // 0000000056E8: D3B1404E 18029D92
	v_pk_mul_f32 v[80:81], v[146:147], v[80:81]                // 0000000056F0: D3B14050 1802A192
	v_pk_mul_f32 v[82:83], v[146:147], v[82:83]                // 0000000056F8: D3B14052 1802A592
	v_pk_mul_f32 v[84:85], v[148:149], v[84:85]                // 000000005700: D3B14054 1802A994
	v_pk_mul_f32 v[86:87], v[148:149], v[86:87]                // 000000005708: D3B14056 1802AD94
	v_pk_mul_f32 v[88:89], v[148:149], v[88:89]                // 000000005710: D3B14058 1802B194
	v_pk_mul_f32 v[90:91], v[148:149], v[90:91]                // 000000005718: D3B1405A 1802B594
	v_pk_mul_f32 v[92:93], v[150:151], v[92:93]                // 000000005720: D3B1405C 1802B996
	v_pk_mul_f32 v[94:95], v[150:151], v[94:95]                // 000000005728: D3B1405E 1802BD96
	v_pk_mul_f32 v[96:97], v[150:151], v[96:97]                // 000000005730: D3B14060 1802C196
	v_pk_mul_f32 v[98:99], v[150:151], v[98:99]                // 000000005738: D3B14062 1802C596
	s_waitcnt lgkmcnt(0)                                       // 000000005740: BF8CC07F
	v_max3_f32 v176, v180, v184, v176                          // 000000005744: D1D300B0 06C371B4
	v_max3_f32 v177, v181, v185, v177                          // 00000000574C: D1D300B1 06C773B5
	v_max3_f32 v178, v182, v186, v178                          // 000000005754: D1D300B2 06CB75B6
	v_max3_f32 v179, v183, v187, v179                          // 00000000575C: D1D300B3 06CF77B7
	v_max3_f32 v176, v188, v192, v176                          // 000000005764: D1D300B0 06C381BC
	v_max3_f32 v177, v189, v193, v177                          // 00000000576C: D1D300B1 06C783BD
	v_max3_f32 v178, v190, v194, v178                          // 000000005774: D1D300B2 06CB85BE
	v_max3_f32 v179, v191, v195, v179                          // 00000000577C: D1D300B3 06CF87BF
	v_max_f32_e32 v156, v176, v152                             // 000000005784: 173931B0
	v_mul_f32_e64 v196, -s46, v156                             // 000000005788: D10500C4 2003382E
	v_mov_b32_e32 v197, v196                                   // 000000005790: 7F8A03C4
	v_pk_fma_f32 v[4:5], v[4:5], s[46:47], v[196:197]          // 000000005794: D3B04004 1F105D04
	v_pk_fma_f32 v[6:7], v[6:7], s[46:47], v[196:197]          // 00000000579C: D3B04006 1F105D06
	v_exp_f32_e32 v4, v4                                       // 0000000057A4: 7E084104
	v_exp_f32_e32 v5, v5                                       // 0000000057A8: 7E0A4105
	v_exp_f32_e32 v6, v6                                       // 0000000057AC: 7E0C4106
	v_exp_f32_e32 v7, v7                                       // 0000000057B0: 7E0E4107
	v_pk_fma_f32 v[8:9], v[8:9], s[46:47], v[196:197]          // 0000000057B4: D3B04008 1F105D08
	v_pk_fma_f32 v[10:11], v[10:11], s[46:47], v[196:197]      // 0000000057BC: D3B0400A 1F105D0A
	v_exp_f32_e32 v8, v8                                       // 0000000057C4: 7E104108
	v_exp_f32_e32 v9, v9                                       // 0000000057C8: 7E124109
	v_exp_f32_e32 v10, v10                                     // 0000000057CC: 7E14410A
	v_exp_f32_e32 v11, v11                                     // 0000000057D0: 7E16410B
	v_pk_fma_f32 v[12:13], v[12:13], s[46:47], v[196:197]      // 0000000057D4: D3B0400C 1F105D0C
	v_pk_fma_f32 v[14:15], v[14:15], s[46:47], v[196:197]      // 0000000057DC: D3B0400E 1F105D0E
	v_exp_f32_e32 v12, v12                                     // 0000000057E4: 7E18410C
	v_exp_f32_e32 v13, v13                                     // 0000000057E8: 7E1A410D
	v_exp_f32_e32 v14, v14                                     // 0000000057EC: 7E1C410E
	v_exp_f32_e32 v15, v15                                     // 0000000057F0: 7E1E410F
	v_pk_fma_f32 v[16:17], v[16:17], s[46:47], v[196:197]      // 0000000057F4: D3B04010 1F105D10
	v_pk_fma_f32 v[18:19], v[18:19], s[46:47], v[196:197]      // 0000000057FC: D3B04012 1F105D12
	v_exp_f32_e32 v16, v16                                     // 000000005804: 7E204110
	v_exp_f32_e32 v17, v17                                     // 000000005808: 7E224111
	v_exp_f32_e32 v18, v18                                     // 00000000580C: 7E244112
	v_exp_f32_e32 v19, v19                                     // 000000005810: 7E264113
	v_max_f32_e32 v157, v177, v153                             // 000000005814: 173B33B1
	v_mul_f32_e64 v196, -s46, v157                             // 000000005818: D10500C4 20033A2E
	v_mov_b32_e32 v197, v196                                   // 000000005820: 7F8A03C4
	v_pk_fma_f32 v[20:21], v[20:21], s[46:47], v[196:197]      // 000000005824: D3B04014 1F105D14
	v_pk_fma_f32 v[22:23], v[22:23], s[46:47], v[196:197]      // 00000000582C: D3B04016 1F105D16
	v_exp_f32_e32 v20, v20                                     // 000000005834: 7E284114
	v_exp_f32_e32 v21, v21                                     // 000000005838: 7E2A4115
	v_exp_f32_e32 v22, v22                                     // 00000000583C: 7E2C4116
	v_exp_f32_e32 v23, v23                                     // 000000005840: 7E2E4117
	v_pk_fma_f32 v[24:25], v[24:25], s[46:47], v[196:197]      // 000000005844: D3B04018 1F105D18
	v_pk_fma_f32 v[26:27], v[26:27], s[46:47], v[196:197]      // 00000000584C: D3B0401A 1F105D1A
	v_exp_f32_e32 v24, v24                                     // 000000005854: 7E304118
	v_exp_f32_e32 v25, v25                                     // 000000005858: 7E324119
	v_exp_f32_e32 v26, v26                                     // 00000000585C: 7E34411A
	v_exp_f32_e32 v27, v27                                     // 000000005860: 7E36411B
	v_pk_fma_f32 v[28:29], v[28:29], s[46:47], v[196:197]      // 000000005864: D3B0401C 1F105D1C
	v_pk_fma_f32 v[30:31], v[30:31], s[46:47], v[196:197]      // 00000000586C: D3B0401E 1F105D1E
	v_exp_f32_e32 v28, v28                                     // 000000005874: 7E38411C
	v_exp_f32_e32 v29, v29                                     // 000000005878: 7E3A411D
	v_exp_f32_e32 v30, v30                                     // 00000000587C: 7E3C411E
	v_exp_f32_e32 v31, v31                                     // 000000005880: 7E3E411F
	v_pk_fma_f32 v[32:33], v[32:33], s[46:47], v[196:197]      // 000000005884: D3B04020 1F105D20
	v_pk_fma_f32 v[34:35], v[34:35], s[46:47], v[196:197]      // 00000000588C: D3B04022 1F105D22
	v_exp_f32_e32 v32, v32                                     // 000000005894: 7E404120
	v_exp_f32_e32 v33, v33                                     // 000000005898: 7E424121
	v_exp_f32_e32 v34, v34                                     // 00000000589C: 7E444122
	v_exp_f32_e32 v35, v35                                     // 0000000058A0: 7E464123
	v_max_f32_e32 v158, v178, v154                             // 0000000058A4: 173D35B2
	v_mul_f32_e64 v196, -s46, v158                             // 0000000058A8: D10500C4 20033C2E
	v_mov_b32_e32 v197, v196                                   // 0000000058B0: 7F8A03C4
	v_pk_fma_f32 v[36:37], v[36:37], s[46:47], v[196:197]      // 0000000058B4: D3B04024 1F105D24
	v_pk_fma_f32 v[38:39], v[38:39], s[46:47], v[196:197]      // 0000000058BC: D3B04026 1F105D26
	v_exp_f32_e32 v36, v36                                     // 0000000058C4: 7E484124
	v_exp_f32_e32 v37, v37                                     // 0000000058C8: 7E4A4125
	v_exp_f32_e32 v38, v38                                     // 0000000058CC: 7E4C4126
	v_exp_f32_e32 v39, v39                                     // 0000000058D0: 7E4E4127
	v_pk_fma_f32 v[40:41], v[40:41], s[46:47], v[196:197]      // 0000000058D4: D3B04028 1F105D28
	v_pk_fma_f32 v[42:43], v[42:43], s[46:47], v[196:197]      // 0000000058DC: D3B0402A 1F105D2A
	v_exp_f32_e32 v40, v40                                     // 0000000058E4: 7E504128
	v_exp_f32_e32 v41, v41                                     // 0000000058E8: 7E524129
	v_exp_f32_e32 v42, v42                                     // 0000000058EC: 7E54412A
	v_exp_f32_e32 v43, v43                                     // 0000000058F0: 7E56412B
	v_pk_fma_f32 v[44:45], v[44:45], s[46:47], v[196:197]      // 0000000058F4: D3B0402C 1F105D2C
	v_pk_fma_f32 v[46:47], v[46:47], s[46:47], v[196:197]      // 0000000058FC: D3B0402E 1F105D2E
	v_exp_f32_e32 v44, v44                                     // 000000005904: 7E58412C
	v_exp_f32_e32 v45, v45                                     // 000000005908: 7E5A412D
	v_exp_f32_e32 v46, v46                                     // 00000000590C: 7E5C412E
	v_exp_f32_e32 v47, v47                                     // 000000005910: 7E5E412F
	v_pk_fma_f32 v[48:49], v[48:49], s[46:47], v[196:197]      // 000000005914: D3B04030 1F105D30
	v_pk_fma_f32 v[50:51], v[50:51], s[46:47], v[196:197]      // 00000000591C: D3B04032 1F105D32
	v_exp_f32_e32 v48, v48                                     // 000000005924: 7E604130
	v_exp_f32_e32 v49, v49                                     // 000000005928: 7E624131
	v_exp_f32_e32 v50, v50                                     // 00000000592C: 7E644132
	v_exp_f32_e32 v51, v51                                     // 000000005930: 7E664133
	v_max_f32_e32 v159, v179, v155                             // 000000005934: 173F37B3
	v_mul_f32_e64 v196, -s46, v159                             // 000000005938: D10500C4 20033E2E
	v_mov_b32_e32 v197, v196                                   // 000000005940: 7F8A03C4
	v_pk_fma_f32 v[52:53], v[52:53], s[46:47], v[196:197]      // 000000005944: D3B04034 1F105D34
	v_pk_fma_f32 v[54:55], v[54:55], s[46:47], v[196:197]      // 00000000594C: D3B04036 1F105D36
	v_exp_f32_e32 v52, v52                                     // 000000005954: 7E684134
	v_exp_f32_e32 v53, v53                                     // 000000005958: 7E6A4135
	v_exp_f32_e32 v54, v54                                     // 00000000595C: 7E6C4136
	v_exp_f32_e32 v55, v55                                     // 000000005960: 7E6E4137
	v_pk_fma_f32 v[56:57], v[56:57], s[46:47], v[196:197]      // 000000005964: D3B04038 1F105D38
	v_pk_fma_f32 v[58:59], v[58:59], s[46:47], v[196:197]      // 00000000596C: D3B0403A 1F105D3A
	v_exp_f32_e32 v56, v56                                     // 000000005974: 7E704138
	v_exp_f32_e32 v57, v57                                     // 000000005978: 7E724139
	v_exp_f32_e32 v58, v58                                     // 00000000597C: 7E74413A
	v_exp_f32_e32 v59, v59                                     // 000000005980: 7E76413B
	v_pk_fma_f32 v[60:61], v[60:61], s[46:47], v[196:197]      // 000000005984: D3B0403C 1F105D3C
	v_pk_fma_f32 v[62:63], v[62:63], s[46:47], v[196:197]      // 00000000598C: D3B0403E 1F105D3E
	v_exp_f32_e32 v60, v60                                     // 000000005994: 7E78413C
	v_exp_f32_e32 v61, v61                                     // 000000005998: 7E7A413D
	v_exp_f32_e32 v62, v62                                     // 00000000599C: 7E7C413E
	v_exp_f32_e32 v63, v63                                     // 0000000059A0: 7E7E413F
	v_pk_fma_f32 v[64:65], v[64:65], s[46:47], v[196:197]      // 0000000059A4: D3B04040 1F105D40
	v_pk_fma_f32 v[66:67], v[66:67], s[46:47], v[196:197]      // 0000000059AC: D3B04042 1F105D42
	v_exp_f32_e32 v64, v64                                     // 0000000059B4: 7E804140
	v_exp_f32_e32 v65, v65                                     // 0000000059B8: 7E824141
	v_exp_f32_e32 v66, v66                                     // 0000000059BC: 7E844142
	v_exp_f32_e32 v67, v67                                     // 0000000059C0: 7E864143
	v_sub_f32_e32 v160, v152, v156                             // 0000000059C4: 05413998
	v_cmp_eq_u32_e64 s[98:99], v216, v152                      // 0000000059C8: D0CA0062 000331D8
	v_cndmask_b32_e64 v160, v160, 0, s[98:99]                  // 0000000059D0: D10000A0 018901A0
	v_mov_b32_e32 v152, v156                                   // 0000000059D8: 7F30039C
	v_mul_f32_e32 v160, s46, v160                              // 0000000059DC: 0B41402E
	v_exp_f32_e32 v160, v160                                   // 0000000059E0: 7F4041A0
	v_sub_f32_e32 v162, v153, v157                             // 0000000059E4: 05453B99
	v_cmp_eq_u32_e64 s[98:99], v216, v153                      // 0000000059E8: D0CA0062 000333D8
	v_cndmask_b32_e64 v162, v162, 0, s[98:99]                  // 0000000059F0: D10000A2 018901A2
	v_mov_b32_e32 v153, v157                                   // 0000000059F8: 7F32039D
	v_mul_f32_e32 v162, s46, v162                              // 0000000059FC: 0B45442E
	v_exp_f32_e32 v162, v162                                   // 000000005A00: 7F4441A2
	v_sub_f32_e32 v164, v154, v158                             // 000000005A04: 05493D9A
	v_cmp_eq_u32_e64 s[98:99], v216, v154                      // 000000005A08: D0CA0062 000335D8
	v_cndmask_b32_e64 v164, v164, 0, s[98:99]                  // 000000005A10: D10000A4 018901A4
	v_mov_b32_e32 v154, v158                                   // 000000005A18: 7F34039E
	v_mul_f32_e32 v164, s46, v164                              // 000000005A1C: 0B49482E
	v_exp_f32_e32 v164, v164                                   // 000000005A20: 7F4841A4
	v_sub_f32_e32 v166, v155, v159                             // 000000005A24: 054D3F9B
	v_cmp_eq_u32_e64 s[98:99], v216, v155                      // 000000005A28: D0CA0062 000337D8
	v_cndmask_b32_e64 v166, v166, 0, s[98:99]                  // 000000005A30: D10000A6 018901A6
	v_mov_b32_e32 v155, v159                                   // 000000005A38: 7F36039F
	v_mul_f32_e32 v166, s46, v166                              // 000000005A3C: 0B4D4C2E
	v_exp_f32_e32 v166, v166                                   // 000000005A40: 7F4C41A6
	v_mov_b32_e32 v161, v160                                   // 000000005A44: 7F4203A0
	v_mov_b32_e32 v163, v162                                   // 000000005A48: 7F4603A2
	v_mov_b32_e32 v165, v164                                   // 000000005A4C: 7F4A03A4
	v_mov_b32_e32 v167, v166                                   // 000000005A50: 7F4E03A6
	v_mul_f32_e32 v168, v160, v168                             // 000000005A54: 0B5151A0
	v_mov_b32_e32 v169, 0                                      // 000000005A58: 7F520280
	v_pk_add_f32 v[168:169], v[4:5], v[168:169]                // 000000005A5C: D3B240A8 18035104
	v_pk_add_f32 v[168:169], v[6:7], v[168:169]                // 000000005A64: D3B240A8 18035106
	v_pk_add_f32 v[168:169], v[8:9], v[168:169]                // 000000005A6C: D3B240A8 18035108
	v_pk_add_f32 v[168:169], v[10:11], v[168:169]              // 000000005A74: D3B240A8 1803510A
	v_pk_add_f32 v[168:169], v[12:13], v[168:169]              // 000000005A7C: D3B240A8 1803510C
	v_pk_add_f32 v[168:169], v[14:15], v[168:169]              // 000000005A84: D3B240A8 1803510E
	v_pk_add_f32 v[168:169], v[16:17], v[168:169]              // 000000005A8C: D3B240A8 18035110
	v_pk_add_f32 v[168:169], v[18:19], v[168:169]              // 000000005A94: D3B240A8 18035112
	v_add_f32_e32 v168, v169, v168                             // 000000005A9C: 035151A9
	v_mul_f32_e32 v170, v162, v170                             // 000000005AA0: 0B5555A2
	v_mov_b32_e32 v171, 0                                      // 000000005AA4: 7F560280
	v_pk_add_f32 v[170:171], v[20:21], v[170:171]              // 000000005AA8: D3B240AA 18035514
	v_pk_add_f32 v[170:171], v[22:23], v[170:171]              // 000000005AB0: D3B240AA 18035516
	v_pk_add_f32 v[170:171], v[24:25], v[170:171]              // 000000005AB8: D3B240AA 18035518
	v_pk_add_f32 v[170:171], v[26:27], v[170:171]              // 000000005AC0: D3B240AA 1803551A
	v_pk_add_f32 v[170:171], v[28:29], v[170:171]              // 000000005AC8: D3B240AA 1803551C
	v_pk_add_f32 v[170:171], v[30:31], v[170:171]              // 000000005AD0: D3B240AA 1803551E
	v_pk_add_f32 v[170:171], v[32:33], v[170:171]              // 000000005AD8: D3B240AA 18035520
	v_pk_add_f32 v[170:171], v[34:35], v[170:171]              // 000000005AE0: D3B240AA 18035522
	v_add_f32_e32 v170, v171, v170                             // 000000005AE8: 035555AB
	v_mul_f32_e32 v172, v164, v172                             // 000000005AEC: 0B5959A4
	v_mov_b32_e32 v173, 0                                      // 000000005AF0: 7F5A0280
	v_pk_add_f32 v[172:173], v[36:37], v[172:173]              // 000000005AF4: D3B240AC 18035924
	v_pk_add_f32 v[172:173], v[38:39], v[172:173]              // 000000005AFC: D3B240AC 18035926
	v_pk_add_f32 v[172:173], v[40:41], v[172:173]              // 000000005B04: D3B240AC 18035928
	v_pk_add_f32 v[172:173], v[42:43], v[172:173]              // 000000005B0C: D3B240AC 1803592A
	v_pk_add_f32 v[172:173], v[44:45], v[172:173]              // 000000005B14: D3B240AC 1803592C
	v_pk_add_f32 v[172:173], v[46:47], v[172:173]              // 000000005B1C: D3B240AC 1803592E
	v_pk_add_f32 v[172:173], v[48:49], v[172:173]              // 000000005B24: D3B240AC 18035930
	v_pk_add_f32 v[172:173], v[50:51], v[172:173]              // 000000005B2C: D3B240AC 18035932
	v_add_f32_e32 v172, v173, v172                             // 000000005B34: 035959AD
	v_mul_f32_e32 v174, v166, v174                             // 000000005B38: 0B5D5DA6
	v_mov_b32_e32 v175, 0                                      // 000000005B3C: 7F5E0280
	v_pk_add_f32 v[174:175], v[52:53], v[174:175]              // 000000005B40: D3B240AE 18035D34
	v_pk_add_f32 v[174:175], v[54:55], v[174:175]              // 000000005B48: D3B240AE 18035D36
	v_pk_add_f32 v[174:175], v[56:57], v[174:175]              // 000000005B50: D3B240AE 18035D38
	v_pk_add_f32 v[174:175], v[58:59], v[174:175]              // 000000005B58: D3B240AE 18035D3A
	v_pk_add_f32 v[174:175], v[60:61], v[174:175]              // 000000005B60: D3B240AE 18035D3C
	v_pk_add_f32 v[174:175], v[62:63], v[174:175]              // 000000005B68: D3B240AE 18035D3E
	v_pk_add_f32 v[174:175], v[64:65], v[174:175]              // 000000005B70: D3B240AE 18035D40
	v_pk_add_f32 v[174:175], v[66:67], v[174:175]              // 000000005B78: D3B240AE 18035D42
	v_add_f32_e32 v174, v175, v174                             // 000000005B80: 035D5DAF
	v_mul_f32_dpp v4, v143, v4 row_newbcast:0 row_mask:0xf bank_mask:0xf// 000000005B84: 0A0808FA FF01508F
	v_mul_f32_dpp v5, v143, v5 row_newbcast:1 row_mask:0xf bank_mask:0xf// 000000005B8C: 0A0A0AFA FF01518F
	v_mul_f32_dpp v6, v143, v6 row_newbcast:2 row_mask:0xf bank_mask:0xf// 000000005B94: 0A0C0CFA FF01528F
	v_mul_f32_dpp v7, v143, v7 row_newbcast:3 row_mask:0xf bank_mask:0xf// 000000005B9C: 0A0E0EFA FF01538F
	v_mul_f32_dpp v8, v143, v8 row_newbcast:4 row_mask:0xf bank_mask:0xf// 000000005BA4: 0A1010FA FF01548F
	v_mul_f32_dpp v9, v143, v9 row_newbcast:5 row_mask:0xf bank_mask:0xf// 000000005BAC: 0A1212FA FF01558F
	v_mul_f32_dpp v10, v143, v10 row_newbcast:6 row_mask:0xf bank_mask:0xf// 000000005BB4: 0A1414FA FF01568F
	v_mul_f32_dpp v11, v143, v11 row_newbcast:7 row_mask:0xf bank_mask:0xf// 000000005BBC: 0A1616FA FF01578F
	v_mul_f32_dpp v12, v143, v12 row_newbcast:8 row_mask:0xf bank_mask:0xf// 000000005BC4: 0A1818FA FF01588F
	v_mul_f32_dpp v13, v143, v13 row_newbcast:9 row_mask:0xf bank_mask:0xf// 000000005BCC: 0A1A1AFA FF01598F
	v_mul_f32_dpp v14, v143, v14 row_newbcast:10 row_mask:0xf bank_mask:0xf// 000000005BD4: 0A1C1CFA FF015A8F
	v_mul_f32_dpp v15, v143, v15 row_newbcast:11 row_mask:0xf bank_mask:0xf// 000000005BDC: 0A1E1EFA FF015B8F
	v_mul_f32_dpp v16, v143, v16 row_newbcast:12 row_mask:0xf bank_mask:0xf// 000000005BE4: 0A2020FA FF015C8F
	v_mul_f32_dpp v17, v143, v17 row_newbcast:13 row_mask:0xf bank_mask:0xf// 000000005BEC: 0A2222FA FF015D8F
	v_mul_f32_dpp v18, v143, v18 row_newbcast:14 row_mask:0xf bank_mask:0xf// 000000005BF4: 0A2424FA FF015E8F
	v_mul_f32_dpp v19, v143, v19 row_newbcast:15 row_mask:0xf bank_mask:0xf// 000000005BFC: 0A2626FA FF015F8F
	v_mul_f32_dpp v20, v143, v20 row_newbcast:0 row_mask:0xf bank_mask:0xf// 000000005C04: 0A2828FA FF01508F
	v_mul_f32_dpp v21, v143, v21 row_newbcast:1 row_mask:0xf bank_mask:0xf// 000000005C0C: 0A2A2AFA FF01518F
	v_mul_f32_dpp v22, v143, v22 row_newbcast:2 row_mask:0xf bank_mask:0xf// 000000005C14: 0A2C2CFA FF01528F
	v_mul_f32_dpp v23, v143, v23 row_newbcast:3 row_mask:0xf bank_mask:0xf// 000000005C1C: 0A2E2EFA FF01538F
	v_mul_f32_dpp v24, v143, v24 row_newbcast:4 row_mask:0xf bank_mask:0xf// 000000005C24: 0A3030FA FF01548F
	v_mul_f32_dpp v25, v143, v25 row_newbcast:5 row_mask:0xf bank_mask:0xf// 000000005C2C: 0A3232FA FF01558F
	v_mul_f32_dpp v26, v143, v26 row_newbcast:6 row_mask:0xf bank_mask:0xf// 000000005C34: 0A3434FA FF01568F
	v_mul_f32_dpp v27, v143, v27 row_newbcast:7 row_mask:0xf bank_mask:0xf// 000000005C3C: 0A3636FA FF01578F
	v_mul_f32_dpp v28, v143, v28 row_newbcast:8 row_mask:0xf bank_mask:0xf// 000000005C44: 0A3838FA FF01588F
	v_mul_f32_dpp v29, v143, v29 row_newbcast:9 row_mask:0xf bank_mask:0xf// 000000005C4C: 0A3A3AFA FF01598F
	v_mul_f32_dpp v30, v143, v30 row_newbcast:10 row_mask:0xf bank_mask:0xf// 000000005C54: 0A3C3CFA FF015A8F
	v_mul_f32_dpp v31, v143, v31 row_newbcast:11 row_mask:0xf bank_mask:0xf// 000000005C5C: 0A3E3EFA FF015B8F
	v_mul_f32_dpp v32, v143, v32 row_newbcast:12 row_mask:0xf bank_mask:0xf// 000000005C64: 0A4040FA FF015C8F
	v_mul_f32_dpp v33, v143, v33 row_newbcast:13 row_mask:0xf bank_mask:0xf// 000000005C6C: 0A4242FA FF015D8F
	v_mul_f32_dpp v34, v143, v34 row_newbcast:14 row_mask:0xf bank_mask:0xf// 000000005C74: 0A4444FA FF015E8F
	v_mul_f32_dpp v35, v143, v35 row_newbcast:15 row_mask:0xf bank_mask:0xf// 000000005C7C: 0A4646FA FF015F8F
	v_mul_f32_dpp v36, v143, v36 row_newbcast:0 row_mask:0xf bank_mask:0xf// 000000005C84: 0A4848FA FF01508F
	v_mul_f32_dpp v37, v143, v37 row_newbcast:1 row_mask:0xf bank_mask:0xf// 000000005C8C: 0A4A4AFA FF01518F
	v_mul_f32_dpp v38, v143, v38 row_newbcast:2 row_mask:0xf bank_mask:0xf// 000000005C94: 0A4C4CFA FF01528F
	v_mul_f32_dpp v39, v143, v39 row_newbcast:3 row_mask:0xf bank_mask:0xf// 000000005C9C: 0A4E4EFA FF01538F
	v_mul_f32_dpp v40, v143, v40 row_newbcast:4 row_mask:0xf bank_mask:0xf// 000000005CA4: 0A5050FA FF01548F
	v_mul_f32_dpp v41, v143, v41 row_newbcast:5 row_mask:0xf bank_mask:0xf// 000000005CAC: 0A5252FA FF01558F
	v_mul_f32_dpp v42, v143, v42 row_newbcast:6 row_mask:0xf bank_mask:0xf// 000000005CB4: 0A5454FA FF01568F
	v_mul_f32_dpp v43, v143, v43 row_newbcast:7 row_mask:0xf bank_mask:0xf// 000000005CBC: 0A5656FA FF01578F
	v_mul_f32_dpp v44, v143, v44 row_newbcast:8 row_mask:0xf bank_mask:0xf// 000000005CC4: 0A5858FA FF01588F
	v_mul_f32_dpp v45, v143, v45 row_newbcast:9 row_mask:0xf bank_mask:0xf// 000000005CCC: 0A5A5AFA FF01598F
	v_mul_f32_dpp v46, v143, v46 row_newbcast:10 row_mask:0xf bank_mask:0xf// 000000005CD4: 0A5C5CFA FF015A8F
	v_mul_f32_dpp v47, v143, v47 row_newbcast:11 row_mask:0xf bank_mask:0xf// 000000005CDC: 0A5E5EFA FF015B8F
	v_mul_f32_dpp v48, v143, v48 row_newbcast:12 row_mask:0xf bank_mask:0xf// 000000005CE4: 0A6060FA FF015C8F
	v_mul_f32_dpp v49, v143, v49 row_newbcast:13 row_mask:0xf bank_mask:0xf// 000000005CEC: 0A6262FA FF015D8F
	v_mul_f32_dpp v50, v143, v50 row_newbcast:14 row_mask:0xf bank_mask:0xf// 000000005CF4: 0A6464FA FF015E8F
	v_mul_f32_dpp v51, v143, v51 row_newbcast:15 row_mask:0xf bank_mask:0xf// 000000005CFC: 0A6666FA FF015F8F
	v_mul_f32_dpp v52, v143, v52 row_newbcast:0 row_mask:0xf bank_mask:0xf// 000000005D04: 0A6868FA FF01508F
	v_mul_f32_dpp v53, v143, v53 row_newbcast:1 row_mask:0xf bank_mask:0xf// 000000005D0C: 0A6A6AFA FF01518F
	v_mul_f32_dpp v54, v143, v54 row_newbcast:2 row_mask:0xf bank_mask:0xf// 000000005D14: 0A6C6CFA FF01528F
	v_mul_f32_dpp v55, v143, v55 row_newbcast:3 row_mask:0xf bank_mask:0xf// 000000005D1C: 0A6E6EFA FF01538F
	v_mul_f32_dpp v56, v143, v56 row_newbcast:4 row_mask:0xf bank_mask:0xf// 000000005D24: 0A7070FA FF01548F
	v_mul_f32_dpp v57, v143, v57 row_newbcast:5 row_mask:0xf bank_mask:0xf// 000000005D2C: 0A7272FA FF01558F
	v_mul_f32_dpp v58, v143, v58 row_newbcast:6 row_mask:0xf bank_mask:0xf// 000000005D34: 0A7474FA FF01568F
	v_mul_f32_dpp v59, v143, v59 row_newbcast:7 row_mask:0xf bank_mask:0xf// 000000005D3C: 0A7676FA FF01578F
	v_mul_f32_dpp v60, v143, v60 row_newbcast:8 row_mask:0xf bank_mask:0xf// 000000005D44: 0A7878FA FF01588F
	v_mul_f32_dpp v61, v143, v61 row_newbcast:9 row_mask:0xf bank_mask:0xf// 000000005D4C: 0A7A7AFA FF01598F
	v_mul_f32_dpp v62, v143, v62 row_newbcast:10 row_mask:0xf bank_mask:0xf// 000000005D54: 0A7C7CFA FF015A8F
	v_mul_f32_dpp v63, v143, v63 row_newbcast:11 row_mask:0xf bank_mask:0xf// 000000005D5C: 0A7E7EFA FF015B8F
	v_mul_f32_dpp v64, v143, v64 row_newbcast:12 row_mask:0xf bank_mask:0xf// 000000005D64: 0A8080FA FF015C8F
	v_mul_f32_dpp v65, v143, v65 row_newbcast:13 row_mask:0xf bank_mask:0xf// 000000005D6C: 0A8282FA FF015D8F
	v_mul_f32_dpp v66, v143, v66 row_newbcast:14 row_mask:0xf bank_mask:0xf// 000000005D74: 0A8484FA FF015E8F
	v_mul_f32_dpp v67, v143, v67 row_newbcast:15 row_mask:0xf bank_mask:0xf// 000000005D7C: 0A8686FA FF015F8F
	buffer_load_dword v140, v231, s[20:23], 0 offen            // 000000005D84: E0501000 80058CE7
	s_waitcnt lgkmcnt(0)                                       // 000000005D8C: BF8CC07F
	s_barrier                                                  // 000000005D90: BF8A0000
	buffer_load_dword v142, v232, s[24:27], 0 offen            // 000000005D94: E0501000 80068EE8
	s_waitcnt lgkmcnt(0)                                       // 000000005D9C: BF8CC07F
	v_sub_f32_e32 v176, v176, v152                             // 000000005DA0: 056131B0
	v_sub_f32_e32 v177, v177, v153                             // 000000005DA4: 056333B1
	v_sub_f32_e32 v178, v178, v154                             // 000000005DA8: 056535B2
	v_sub_f32_e32 v179, v179, v155                             // 000000005DAC: 056737B3
	v_mul_f32_e32 v176, s46, v176                              // 000000005DB0: 0B61602E
	v_mul_f32_e32 v177, s46, v177                              // 000000005DB4: 0B63622E
	v_mul_f32_e32 v178, s46, v178                              // 000000005DB8: 0B65642E
	v_mul_f32_e32 v179, s46, v179                              // 000000005DBC: 0B67662E
	v_exp_f32_e32 v176, v176                                   // 000000005DC0: 7F6041B0
	v_exp_f32_e32 v177, v177                                   // 000000005DC4: 7F6241B1
	v_exp_f32_e32 v178, v178                                   // 000000005DC8: 7F6441B2
	v_exp_f32_e32 v179, v179                                   // 000000005DCC: 7F6641B3
	v_mul_f32_e32 v176, v143, v176                             // 000000005DD0: 0B61618F
	v_mul_f32_e32 v177, v143, v177                             // 000000005DD4: 0B63638F
	v_mul_f32_e32 v178, v143, v178                             // 000000005DD8: 0B65658F
	v_mul_f32_e32 v179, v143, v179                             // 000000005DDC: 0B67678F
	v_add_f32_e32 v176, 0x3089705f, v176                       // 000000005DE0: 036160FF 3089705F
	v_add_f32_e32 v177, 0x3089705f, v177                       // 000000005DE8: 036362FF 3089705F
	v_add_f32_e32 v178, 0x3089705f, v178                       // 000000005DF0: 036564FF 3089705F
	v_add_f32_e32 v179, 0x3089705f, v179                       // 000000005DF8: 036766FF 3089705F
	v_rcp_f32_e32 v176, v176                                   // 000000005E00: 7F6045B0
	v_rcp_f32_e32 v177, v177                                   // 000000005E04: 7F6245B1
	v_rcp_f32_e32 v178, v178                                   // 000000005E08: 7F6445B2
	v_rcp_f32_e32 v179, v179                                   // 000000005E0C: 7F6645B3
	v_mul_f32_e32 v176, 0x43700000, v176                       // 000000005E10: 0B6160FF 43700000
	v_mul_f32_e32 v177, 0x43700000, v177                       // 000000005E18: 0B6362FF 43700000
	v_mul_f32_e32 v178, 0x43700000, v178                       // 000000005E20: 0B6564FF 43700000
	v_mul_f32_e32 v179, 0x43700000, v179                       // 000000005E28: 0B6766FF 43700000
	v_mul_f32_e32 v4, v176, v4                                 // 000000005E30: 0A0809B0
	v_mul_f32_e32 v5, v176, v5                                 // 000000005E34: 0A0A0BB0
	v_mul_f32_e32 v6, v176, v6                                 // 000000005E38: 0A0C0DB0
	v_mul_f32_e32 v7, v176, v7                                 // 000000005E3C: 0A0E0FB0
	v_mul_f32_e32 v8, v176, v8                                 // 000000005E40: 0A1011B0
	v_mul_f32_e32 v9, v176, v9                                 // 000000005E44: 0A1213B0
	v_mul_f32_e32 v10, v176, v10                               // 000000005E48: 0A1415B0
	v_mul_f32_e32 v11, v176, v11                               // 000000005E4C: 0A1617B0
	v_mul_f32_e32 v12, v176, v12                               // 000000005E50: 0A1819B0
	v_mul_f32_e32 v13, v176, v13                               // 000000005E54: 0A1A1BB0
	v_mul_f32_e32 v14, v176, v14                               // 000000005E58: 0A1C1DB0
	v_mul_f32_e32 v15, v176, v15                               // 000000005E5C: 0A1E1FB0
	v_mul_f32_e32 v16, v176, v16                               // 000000005E60: 0A2021B0
	v_mul_f32_e32 v17, v176, v17                               // 000000005E64: 0A2223B0
	v_mul_f32_e32 v18, v176, v18                               // 000000005E68: 0A2425B0
	v_mul_f32_e32 v19, v176, v19                               // 000000005E6C: 0A2627B0
	v_mul_f32_e32 v20, v177, v20                               // 000000005E70: 0A2829B1
	v_mul_f32_e32 v21, v177, v21                               // 000000005E74: 0A2A2BB1
	v_mul_f32_e32 v22, v177, v22                               // 000000005E78: 0A2C2DB1
	v_mul_f32_e32 v23, v177, v23                               // 000000005E7C: 0A2E2FB1
	v_mul_f32_e32 v24, v177, v24                               // 000000005E80: 0A3031B1
	v_mul_f32_e32 v25, v177, v25                               // 000000005E84: 0A3233B1
	v_mul_f32_e32 v26, v177, v26                               // 000000005E88: 0A3435B1
	v_mul_f32_e32 v27, v177, v27                               // 000000005E8C: 0A3637B1
	v_mul_f32_e32 v28, v177, v28                               // 000000005E90: 0A3839B1
	v_mul_f32_e32 v29, v177, v29                               // 000000005E94: 0A3A3BB1
	v_mul_f32_e32 v30, v177, v30                               // 000000005E98: 0A3C3DB1
	v_mul_f32_e32 v31, v177, v31                               // 000000005E9C: 0A3E3FB1
	v_mul_f32_e32 v32, v177, v32                               // 000000005EA0: 0A4041B1
	v_mul_f32_e32 v33, v177, v33                               // 000000005EA4: 0A4243B1
	v_mul_f32_e32 v34, v177, v34                               // 000000005EA8: 0A4445B1
	v_mul_f32_e32 v35, v177, v35                               // 000000005EAC: 0A4647B1
	v_mul_f32_e32 v36, v178, v36                               // 000000005EB0: 0A4849B2
	v_mul_f32_e32 v37, v178, v37                               // 000000005EB4: 0A4A4BB2
	v_mul_f32_e32 v38, v178, v38                               // 000000005EB8: 0A4C4DB2
	v_mul_f32_e32 v39, v178, v39                               // 000000005EBC: 0A4E4FB2
	v_mul_f32_e32 v40, v178, v40                               // 000000005EC0: 0A5051B2
	v_mul_f32_e32 v41, v178, v41                               // 000000005EC4: 0A5253B2
	v_mul_f32_e32 v42, v178, v42                               // 000000005EC8: 0A5455B2
	v_mul_f32_e32 v43, v178, v43                               // 000000005ECC: 0A5657B2
	v_mul_f32_e32 v44, v178, v44                               // 000000005ED0: 0A5859B2
	v_mul_f32_e32 v45, v178, v45                               // 000000005ED4: 0A5A5BB2
	v_mul_f32_e32 v46, v178, v46                               // 000000005ED8: 0A5C5DB2
	v_mul_f32_e32 v47, v178, v47                               // 000000005EDC: 0A5E5FB2
	v_mul_f32_e32 v48, v178, v48                               // 000000005EE0: 0A6061B2
	v_mul_f32_e32 v49, v178, v49                               // 000000005EE4: 0A6263B2
	v_mul_f32_e32 v50, v178, v50                               // 000000005EE8: 0A6465B2
	v_mul_f32_e32 v51, v178, v51                               // 000000005EEC: 0A6667B2
	v_mul_f32_e32 v52, v179, v52                               // 000000005EF0: 0A6869B3
	v_mul_f32_e32 v53, v179, v53                               // 000000005EF4: 0A6A6BB3
	v_mul_f32_e32 v54, v179, v54                               // 000000005EF8: 0A6C6DB3
	v_mul_f32_e32 v55, v179, v55                               // 000000005EFC: 0A6E6FB3
	v_mul_f32_e32 v56, v179, v56                               // 000000005F00: 0A7071B3
	v_mul_f32_e32 v57, v179, v57                               // 000000005F04: 0A7273B3
	v_mul_f32_e32 v58, v179, v58                               // 000000005F08: 0A7475B3
	v_mul_f32_e32 v59, v179, v59                               // 000000005F0C: 0A7677B3
	v_mul_f32_e32 v60, v179, v60                               // 000000005F10: 0A7879B3
	v_mul_f32_e32 v61, v179, v61                               // 000000005F14: 0A7A7BB3
	v_mul_f32_e32 v62, v179, v62                               // 000000005F18: 0A7C7DB3
	v_mul_f32_e32 v63, v179, v63                               // 000000005F1C: 0A7E7FB3
	v_mul_f32_e32 v64, v179, v64                               // 000000005F20: 0A8081B3
	v_mul_f32_e32 v65, v179, v65                               // 000000005F24: 0A8283B3
	v_mul_f32_e32 v66, v179, v66                               // 000000005F28: 0A8485B3
	v_mul_f32_e32 v67, v179, v67                               // 000000005F2C: 0A8687B3
	v_cvt_pk_fp8_f32 v4, v4, v5                                // 000000005F30: D2A20004 00020B04
	v_cvt_pk_fp8_f32 v4, v6, v7 op_sel:[0,0,1]                 // 000000005F38: D2A24004 00020F06
	v_cvt_pk_fp8_f32 v5, v8, v9                                // 000000005F40: D2A20005 00021308
	v_cvt_pk_fp8_f32 v5, v10, v11 op_sel:[0,0,1]               // 000000005F48: D2A24005 0002170A
	v_cvt_pk_fp8_f32 v6, v12, v13                              // 000000005F50: D2A20006 00021B0C
	v_cvt_pk_fp8_f32 v6, v14, v15 op_sel:[0,0,1]               // 000000005F58: D2A24006 00021F0E
	v_cvt_pk_fp8_f32 v7, v16, v17                              // 000000005F60: D2A20007 00022310
	v_cvt_pk_fp8_f32 v7, v18, v19 op_sel:[0,0,1]               // 000000005F68: D2A24007 00022712
	v_cvt_pk_fp8_f32 v8, v20, v21                              // 000000005F70: D2A20008 00022B14
	v_cvt_pk_fp8_f32 v8, v22, v23 op_sel:[0,0,1]               // 000000005F78: D2A24008 00022F16
	v_cvt_pk_fp8_f32 v9, v24, v25                              // 000000005F80: D2A20009 00023318
	v_cvt_pk_fp8_f32 v9, v26, v27 op_sel:[0,0,1]               // 000000005F88: D2A24009 0002371A
	v_cvt_pk_fp8_f32 v10, v28, v29                             // 000000005F90: D2A2000A 00023B1C
	v_cvt_pk_fp8_f32 v10, v30, v31 op_sel:[0,0,1]              // 000000005F98: D2A2400A 00023F1E
	v_cvt_pk_fp8_f32 v11, v32, v33                             // 000000005FA0: D2A2000B 00024320
	v_cvt_pk_fp8_f32 v11, v34, v35 op_sel:[0,0,1]              // 000000005FA8: D2A2400B 00024722
	v_cvt_pk_fp8_f32 v12, v36, v37                             // 000000005FB0: D2A2000C 00024B24
	v_cvt_pk_fp8_f32 v12, v38, v39 op_sel:[0,0,1]              // 000000005FB8: D2A2400C 00024F26
	v_cvt_pk_fp8_f32 v13, v40, v41                             // 000000005FC0: D2A2000D 00025328
	v_cvt_pk_fp8_f32 v13, v42, v43 op_sel:[0,0,1]              // 000000005FC8: D2A2400D 0002572A
	v_cvt_pk_fp8_f32 v14, v44, v45                             // 000000005FD0: D2A2000E 00025B2C
	v_cvt_pk_fp8_f32 v14, v46, v47 op_sel:[0,0,1]              // 000000005FD8: D2A2400E 00025F2E
	v_cvt_pk_fp8_f32 v15, v48, v49                             // 000000005FE0: D2A2000F 00026330
	v_cvt_pk_fp8_f32 v15, v50, v51 op_sel:[0,0,1]              // 000000005FE8: D2A2400F 00026732
	v_cvt_pk_fp8_f32 v16, v52, v53                             // 000000005FF0: D2A20010 00026B34
	v_cvt_pk_fp8_f32 v16, v54, v55 op_sel:[0,0,1]              // 000000005FF8: D2A24010 00026F36
	v_cvt_pk_fp8_f32 v17, v56, v57                             // 000000006000: D2A20011 00027338
	v_cvt_pk_fp8_f32 v17, v58, v59 op_sel:[0,0,1]              // 000000006008: D2A24011 0002773A
	v_cvt_pk_fp8_f32 v18, v60, v61                             // 000000006010: D2A20012 00027B3C
	v_cvt_pk_fp8_f32 v18, v62, v63 op_sel:[0,0,1]              // 000000006018: D2A24012 00027F3E
	v_cvt_pk_fp8_f32 v19, v64, v65                             // 000000006020: D2A20013 00028340
	v_cvt_pk_fp8_f32 v19, v66, v67 op_sel:[0,0,1]              // 000000006028: D2A24013 00028742
	ds_write_b32 v249, v4 offset:8192                          // 000000006030: D81A2000 000004F9
	ds_write_b32 v249, v5 offset:9216                          // 000000006038: D81A2400 000005F9
	ds_write_b32 v249, v6 offset:10240                         // 000000006040: D81A2800 000006F9
	ds_write_b32 v249, v7 offset:11264                         // 000000006048: D81A2C00 000007F9
	ds_write_b32 v249, v8 offset:12288                         // 000000006050: D81A3000 000008F9
	ds_write_b32 v249, v9 offset:13312                         // 000000006058: D81A3400 000009F9
	ds_write_b32 v249, v10 offset:14336                        // 000000006060: D81A3800 00000AF9
	ds_write_b32 v249, v11 offset:15360                        // 000000006068: D81A3C00 00000BF9
	ds_write_b32 v249, v12 offset:16384                        // 000000006070: D81A4000 00000CF9
	ds_write_b32 v249, v13 offset:17408                        // 000000006078: D81A4400 00000DF9
	ds_write_b32 v249, v14 offset:18432                        // 000000006080: D81A4800 00000EF9
	ds_write_b32 v249, v15 offset:19456                        // 000000006088: D81A4C00 00000FF9
	ds_write_b32 v249, v16 offset:20480                        // 000000006090: D81A5000 000010F9
	ds_write_b32 v249, v17 offset:21504                        // 000000006098: D81A5400 000011F9
	ds_write_b32 v249, v18 offset:22528                        // 0000000060A0: D81A5800 000012F9
	ds_write_b32 v249, v19 offset:23552                        // 0000000060A8: D81A5C00 000013F9
	v_rcp_f32_e32 v144, v176                                   // 0000000060B0: 7F2045B0
	v_rcp_f32_e32 v146, v177                                   // 0000000060B4: 7F2445B1
	v_rcp_f32_e32 v148, v178                                   // 0000000060B8: 7F2845B2
	v_rcp_f32_e32 v150, v179                                   // 0000000060BC: 7F2C45B3
	v_mov_b32_e32 v145, v144                                   // 0000000060C0: 7F220390
	v_mov_b32_e32 v147, v146                                   // 0000000060C4: 7F260392
	v_mov_b32_e32 v149, v148                                   // 0000000060C8: 7F2A0394
	v_mov_b32_e32 v151, v150                                   // 0000000060CC: 7F2E0396
	v_pk_add_f32 v[100:101], v[100:101], v[68:69]              // 0000000060D0: D3B24064 18028964
	v_pk_add_f32 v[102:103], v[102:103], v[70:71]              // 0000000060D8: D3B24066 18028D66
	v_pk_add_f32 v[104:105], v[104:105], v[72:73]              // 0000000060E0: D3B24068 18029168
	v_pk_add_f32 v[106:107], v[106:107], v[74:75]              // 0000000060E8: D3B2406A 1802956A
	v_pk_add_f32 v[108:109], v[108:109], v[76:77]              // 0000000060F0: D3B2406C 1802996C
	v_pk_add_f32 v[110:111], v[110:111], v[78:79]              // 0000000060F8: D3B2406E 18029D6E
	v_pk_add_f32 v[112:113], v[112:113], v[80:81]              // 000000006100: D3B24070 1802A170
	v_pk_add_f32 v[114:115], v[114:115], v[82:83]              // 000000006108: D3B24072 1802A572
	v_pk_add_f32 v[116:117], v[116:117], v[84:85]              // 000000006110: D3B24074 1802A974
	v_pk_add_f32 v[118:119], v[118:119], v[86:87]              // 000000006118: D3B24076 1802AD76
	v_pk_add_f32 v[120:121], v[120:121], v[88:89]              // 000000006120: D3B24078 1802B178
	v_pk_add_f32 v[122:123], v[122:123], v[90:91]              // 000000006128: D3B2407A 1802B57A
	v_pk_add_f32 v[124:125], v[124:125], v[92:93]              // 000000006130: D3B2407C 1802B97C
	v_pk_add_f32 v[126:127], v[126:127], v[94:95]              // 000000006138: D3B2407E 1802BD7E
	v_pk_add_f32 v[128:129], v[128:129], v[96:97]              // 000000006140: D3B24080 1802C180
	v_pk_add_f32 v[130:131], v[130:131], v[98:99]              // 000000006148: D3B24082 1802C582
	s_waitcnt lgkmcnt(0)                                       // 000000006150: BF8CC07F
	s_barrier                                                  // 000000006154: BF8A0000
	ds_read_b128 v[4:7], v250 offset:8192                      // 000000006158: D9FE2000 040000FA
	ds_read_b128 v[8:11], v250 offset:9216                     // 000000006160: D9FE2400 080000FA
	ds_read_b128 v[12:15], v250 offset:10240                   // 000000006168: D9FE2800 0C0000FA
	ds_read_b128 v[16:19], v250 offset:11264                   // 000000006170: D9FE2C00 100000FA
	ds_read_b128 v[20:23], v250 offset:12288                   // 000000006178: D9FE3000 140000FA
	ds_read_b128 v[24:27], v250 offset:13312                   // 000000006180: D9FE3400 180000FA
	ds_read_b128 v[28:31], v250 offset:14336                   // 000000006188: D9FE3800 1C0000FA
	ds_read_b128 v[32:35], v250 offset:15360                   // 000000006190: D9FE3C00 200000FA
	ds_read_b128 v[36:39], v250 offset:16384                   // 000000006198: D9FE4000 240000FA
	ds_read_b128 v[40:43], v250 offset:17408                   // 0000000061A0: D9FE4400 280000FA
	ds_read_b128 v[44:47], v250 offset:18432                   // 0000000061A8: D9FE4800 2C0000FA
	ds_read_b128 v[48:51], v250 offset:19456                   // 0000000061B0: D9FE4C00 300000FA
	ds_read_b128 v[52:55], v250 offset:20480                   // 0000000061B8: D9FE5000 340000FA
	ds_read_b128 v[56:59], v250 offset:21504                   // 0000000061C0: D9FE5400 380000FA
	ds_read_b128 v[60:63], v250 offset:22528                   // 0000000061C8: D9FE5800 3C0000FA
	ds_read_b128 v[64:67], v250 offset:23552                   // 0000000061D0: D9FE5C00 400000FA
	s_waitcnt vmcnt(10)                                        // 0000000061D8: BF8C0F7A
	s_waitcnt vmcnt(63) expcnt(7) lgkmcnt(15)                  // 0000000061DC: BF8CCF7F
	v_mfma_f32_16x16x32_fp8_fp8 v[68:71], a[128:129], v[4:5], 0// 0000000061E0: D3F30044 0A020980
	v_mfma_f32_16x16x32_fp8_fp8 v[72:75], a[144:145], v[4:5], 0// 0000000061E8: D3F30048 0A020990
	v_mfma_f32_16x16x32_fp8_fp8 v[68:71], a[130:131], v[6:7], v[68:71]// 0000000061F0: D3F30044 0D120D82
	buffer_load_dwordx4 a[96:99], v227, s[16:19], 0 offen      // 0000000061F8: E05C1000 808460E3
	v_mfma_f32_16x16x32_fp8_fp8 v[72:75], a[146:147], v[6:7], v[72:75]// 000000006200: D3F30048 0D220D92
	s_waitcnt lgkmcnt(14)                                      // 000000006208: BF8CCE7F
	v_mfma_f32_16x16x32_fp8_fp8 v[68:71], a[132:133], v[8:9], v[68:71]// 00000000620C: D3F30044 0D121184
	v_mfma_f32_16x16x32_fp8_fp8 v[72:75], a[148:149], v[8:9], v[72:75]// 000000006214: D3F30048 0D221194
	v_mfma_f32_16x16x32_fp8_fp8 v[68:71], a[134:135], v[10:11], v[68:71]// 00000000621C: D3F30044 0D121586
	buffer_load_dwordx4 a[100:103], v228, s[16:19], 0 offen    // 000000006224: E05C1000 808464E4
	v_mfma_f32_16x16x32_fp8_fp8 v[72:75], a[150:151], v[10:11], v[72:75]// 00000000622C: D3F30048 0D221596
	s_waitcnt lgkmcnt(13)                                      // 000000006234: BF8CCD7F
	v_mfma_f32_16x16x32_fp8_fp8 v[68:71], a[136:137], v[12:13], v[68:71]// 000000006238: D3F30044 0D121988
	v_mfma_f32_16x16x32_fp8_fp8 v[72:75], a[152:153], v[12:13], v[72:75]// 000000006240: D3F30048 0D221998
	v_mfma_f32_16x16x32_fp8_fp8 v[68:71], a[138:139], v[14:15], v[68:71]// 000000006248: D3F30044 0D121D8A
	buffer_load_dwordx4 a[104:107], v229, s[16:19], 0 offen    // 000000006250: E05C1000 808468E5
	v_mfma_f32_16x16x32_fp8_fp8 v[72:75], a[154:155], v[14:15], v[72:75]// 000000006258: D3F30048 0D221D9A
	s_waitcnt lgkmcnt(12)                                      // 000000006260: BF8CCC7F
	v_mfma_f32_16x16x32_fp8_fp8 v[68:71], a[140:141], v[16:17], v[68:71]// 000000006264: D3F30044 0D12218C
	v_mfma_f32_16x16x32_fp8_fp8 v[72:75], a[156:157], v[16:17], v[72:75]// 00000000626C: D3F30048 0D22219C
	v_mfma_f32_16x16x32_fp8_fp8 v[68:71], a[142:143], v[18:19], v[68:71]// 000000006274: D3F30044 0D12258E
	buffer_load_dwordx4 a[108:111], v230, s[16:19], 0 offen    // 00000000627C: E05C1000 80846CE6
	v_mfma_f32_16x16x32_fp8_fp8 v[72:75], a[158:159], v[18:19], v[72:75]// 000000006284: D3F30048 0D22259E
	s_waitcnt lgkmcnt(11)                                      // 00000000628C: BF8CCB7F
	v_mfma_f32_16x16x32_fp8_fp8 v[76:79], a[128:129], v[20:21], 0// 000000006290: D3F3004C 0A022980
	v_mfma_f32_16x16x32_fp8_fp8 v[80:83], a[144:145], v[20:21], 0// 000000006298: D3F30050 0A022990
	v_mfma_f32_16x16x32_fp8_fp8 v[76:79], a[130:131], v[22:23], v[76:79]// 0000000062A0: D3F3004C 0D322D82
	buffer_load_dwordx4 a[112:115], v227, s[16:19], 0 offen offset:1024// 0000000062A8: E05C1400 808470E3
	v_mfma_f32_16x16x32_fp8_fp8 v[80:83], a[146:147], v[22:23], v[80:83]// 0000000062B0: D3F30050 0D422D92
	s_waitcnt lgkmcnt(10)                                      // 0000000062B8: BF8CCA7F
	v_mfma_f32_16x16x32_fp8_fp8 v[76:79], a[132:133], v[24:25], v[76:79]// 0000000062BC: D3F3004C 0D323184
	v_mfma_f32_16x16x32_fp8_fp8 v[80:83], a[148:149], v[24:25], v[80:83]// 0000000062C4: D3F30050 0D423194
	v_mfma_f32_16x16x32_fp8_fp8 v[76:79], a[134:135], v[26:27], v[76:79]// 0000000062CC: D3F3004C 0D323586
	buffer_load_dwordx4 a[116:119], v228, s[16:19], 0 offen offset:1024// 0000000062D4: E05C1400 808474E4
	v_mfma_f32_16x16x32_fp8_fp8 v[80:83], a[150:151], v[26:27], v[80:83]// 0000000062DC: D3F30050 0D423596
	s_waitcnt lgkmcnt(9)                                       // 0000000062E4: BF8CC97F
	v_mfma_f32_16x16x32_fp8_fp8 v[76:79], a[136:137], v[28:29], v[76:79]// 0000000062E8: D3F3004C 0D323988
	v_mfma_f32_16x16x32_fp8_fp8 v[80:83], a[152:153], v[28:29], v[80:83]// 0000000062F0: D3F30050 0D423998
	v_mfma_f32_16x16x32_fp8_fp8 v[76:79], a[138:139], v[30:31], v[76:79]// 0000000062F8: D3F3004C 0D323D8A
	buffer_load_dwordx4 a[120:123], v229, s[16:19], 0 offen offset:1024// 000000006300: E05C1400 808478E5
	v_mfma_f32_16x16x32_fp8_fp8 v[80:83], a[154:155], v[30:31], v[80:83]// 000000006308: D3F30050 0D423D9A
	s_waitcnt lgkmcnt(8)                                       // 000000006310: BF8CC87F
	v_mfma_f32_16x16x32_fp8_fp8 v[76:79], a[140:141], v[32:33], v[76:79]// 000000006314: D3F3004C 0D32418C
	v_mfma_f32_16x16x32_fp8_fp8 v[80:83], a[156:157], v[32:33], v[80:83]// 00000000631C: D3F30050 0D42419C
	v_mfma_f32_16x16x32_fp8_fp8 v[76:79], a[142:143], v[34:35], v[76:79]// 000000006324: D3F3004C 0D32458E
	buffer_load_dwordx4 a[124:127], v230, s[16:19], 0 offen offset:1024// 00000000632C: E05C1400 80847CE6
	v_mfma_f32_16x16x32_fp8_fp8 v[80:83], a[158:159], v[34:35], v[80:83]// 000000006334: D3F30050 0D42459E
	s_waitcnt lgkmcnt(7)                                       // 00000000633C: BF8CC77F
	v_mfma_f32_16x16x32_fp8_fp8 v[84:87], a[128:129], v[36:37], 0// 000000006340: D3F30054 0A024980
	v_mfma_f32_16x16x32_fp8_fp8 v[88:91], a[144:145], v[36:37], 0// 000000006348: D3F30058 0A024990
	v_mfma_f32_16x16x32_fp8_fp8 v[84:87], a[130:131], v[38:39], v[84:87]// 000000006350: D3F30054 0D524D82
	v_mfma_f32_16x16x32_fp8_fp8 v[88:91], a[146:147], v[38:39], v[88:91]// 000000006358: D3F30058 0D624D92
	s_waitcnt lgkmcnt(6)                                       // 000000006360: BF8CC67F
	v_mfma_f32_16x16x32_fp8_fp8 v[84:87], a[132:133], v[40:41], v[84:87]// 000000006364: D3F30054 0D525184
	v_mfma_f32_16x16x32_fp8_fp8 v[88:91], a[148:149], v[40:41], v[88:91]// 00000000636C: D3F30058 0D625194
	v_mfma_f32_16x16x32_fp8_fp8 v[84:87], a[134:135], v[42:43], v[84:87]// 000000006374: D3F30054 0D525586
	v_mfma_f32_16x16x32_fp8_fp8 v[88:91], a[150:151], v[42:43], v[88:91]// 00000000637C: D3F30058 0D625596
	s_waitcnt lgkmcnt(5)                                       // 000000006384: BF8CC57F
	v_mfma_f32_16x16x32_fp8_fp8 v[84:87], a[136:137], v[44:45], v[84:87]// 000000006388: D3F30054 0D525988
	v_mfma_f32_16x16x32_fp8_fp8 v[88:91], a[152:153], v[44:45], v[88:91]// 000000006390: D3F30058 0D625998
	v_mfma_f32_16x16x32_fp8_fp8 v[84:87], a[138:139], v[46:47], v[84:87]// 000000006398: D3F30054 0D525D8A
	v_mfma_f32_16x16x32_fp8_fp8 v[88:91], a[154:155], v[46:47], v[88:91]// 0000000063A0: D3F30058 0D625D9A
	s_waitcnt lgkmcnt(4)                                       // 0000000063A8: BF8CC47F
	v_mfma_f32_16x16x32_fp8_fp8 v[84:87], a[140:141], v[48:49], v[84:87]// 0000000063AC: D3F30054 0D52618C
	v_mfma_f32_16x16x32_fp8_fp8 v[88:91], a[156:157], v[48:49], v[88:91]// 0000000063B4: D3F30058 0D62619C
	v_mfma_f32_16x16x32_fp8_fp8 v[84:87], a[142:143], v[50:51], v[84:87]// 0000000063BC: D3F30054 0D52658E
	v_mfma_f32_16x16x32_fp8_fp8 v[88:91], a[158:159], v[50:51], v[88:91]// 0000000063C4: D3F30058 0D62659E
	s_waitcnt lgkmcnt(3)                                       // 0000000063CC: BF8CC37F
	v_mfma_f32_16x16x32_fp8_fp8 v[92:95], a[128:129], v[52:53], 0// 0000000063D0: D3F3005C 0A026980
	v_mfma_f32_16x16x32_fp8_fp8 v[96:99], a[144:145], v[52:53], 0// 0000000063D8: D3F30060 0A026990
	v_mfma_f32_16x16x32_fp8_fp8 v[92:95], a[130:131], v[54:55], v[92:95]// 0000000063E0: D3F3005C 0D726D82
	v_mfma_f32_16x16x32_fp8_fp8 v[96:99], a[146:147], v[54:55], v[96:99]// 0000000063E8: D3F30060 0D826D92
	s_waitcnt lgkmcnt(2)                                       // 0000000063F0: BF8CC27F
	v_mfma_f32_16x16x32_fp8_fp8 v[92:95], a[132:133], v[56:57], v[92:95]// 0000000063F4: D3F3005C 0D727184
	v_mfma_f32_16x16x32_fp8_fp8 v[96:99], a[148:149], v[56:57], v[96:99]// 0000000063FC: D3F30060 0D827194
	v_mfma_f32_16x16x32_fp8_fp8 v[92:95], a[134:135], v[58:59], v[92:95]// 000000006404: D3F3005C 0D727586
	v_mfma_f32_16x16x32_fp8_fp8 v[96:99], a[150:151], v[58:59], v[96:99]// 00000000640C: D3F30060 0D827596
	s_waitcnt lgkmcnt(1)                                       // 000000006414: BF8CC17F
	v_mfma_f32_16x16x32_fp8_fp8 v[92:95], a[136:137], v[60:61], v[92:95]// 000000006418: D3F3005C 0D727988
	v_mfma_f32_16x16x32_fp8_fp8 v[96:99], a[152:153], v[60:61], v[96:99]// 000000006420: D3F30060 0D827998
	v_mfma_f32_16x16x32_fp8_fp8 v[92:95], a[138:139], v[62:63], v[92:95]// 000000006428: D3F3005C 0D727D8A
	v_mfma_f32_16x16x32_fp8_fp8 v[96:99], a[154:155], v[62:63], v[96:99]// 000000006430: D3F30060 0D827D9A
	s_waitcnt lgkmcnt(0)                                       // 000000006438: BF8CC07F
	v_mfma_f32_16x16x32_fp8_fp8 v[92:95], a[140:141], v[64:65], v[92:95]// 00000000643C: D3F3005C 0D72818C
	v_mfma_f32_16x16x32_fp8_fp8 v[96:99], a[156:157], v[64:65], v[96:99]// 000000006444: D3F30060 0D82819C
	v_mfma_f32_16x16x32_fp8_fp8 v[92:95], a[142:143], v[66:67], v[92:95]// 00000000644C: D3F3005C 0D72858E
	v_mfma_f32_16x16x32_fp8_fp8 v[96:99], a[158:159], v[66:67], v[96:99]// 000000006454: D3F30060 0D82859E
	s_addk_i32 s64, 0x100                                      // 00000000645C: B7400100
	s_cmp_lt_i32 s64, s63                                      // 000000006460: BF043F40
	s_cbranch_scc0 label_4200                                  // 000000006464: BF843266
	s_waitcnt vmcnt(10)                                        // 000000006468: BF8C0F7A
	v_mfma_f32_16x16x32_fp8_fp8 v[4:7], a[32:33], a[0:1], 0    // 00000000646C: D3F30004 1A020120
	s_add_u32 s12, s86, s69                                    // 000000006474: 800C4556
	s_addc_u32 s13, s87, 0                                     // 000000006478: 820D8057
	v_mfma_f32_16x16x32_fp8_fp8 v[4:7], a[34:35], a[2:3], v[4:7]// 00000000647C: D3F30004 1C120522
	s_add_u32 s16, s88, s70                                    // 000000006484: 80104658
	s_addc_u32 s17, s89, 0                                     // 000000006488: 82118059
	v_mfma_f32_16x16x32_fp8_fp8 v[4:7], a[36:37], a[4:5], v[4:7]// 00000000648C: D3F30004 1C120924
	buffer_load_dwordx4 a[64:67], v225, s[12:15], 0 offen      // 000000006494: E05C1000 808340E1
	v_mfma_f32_16x16x32_fp8_fp8 v[4:7], a[38:39], a[6:7], v[4:7]// 00000000649C: D3F30004 1C120D26
	s_add_u32 s20, s90, s71                                    // 0000000064A4: 8014475A
	s_addc_u32 s21, s91, 0                                     // 0000000064A8: 8215805B
	v_mfma_f32_16x16x32_fp8_fp8 v[8:11], a[40:41], a[0:1], 0   // 0000000064AC: D3F30008 1A020128
	s_add_u32 s24, s92, s71                                    // 0000000064B4: 8018475C
	s_addc_u32 s25, s93, 0                                     // 0000000064B8: 8219805D
	v_mfma_f32_16x16x32_fp8_fp8 v[8:11], a[42:43], a[2:3], v[8:11]// 0000000064BC: D3F30008 1C22052A
	s_mul_i32 s69, s59, s50                                    // 0000000064C4: 9245323B
	s_mul_i32 s71, s59, s66                                    // 0000000064C8: 9247423B
	v_mfma_f32_16x16x32_fp8_fp8 v[8:11], a[44:45], a[4:5], v[8:11]// 0000000064CC: D3F30008 1C22092C
	buffer_load_dwordx4 a[68:71], v226, s[12:15], 0 offen      // 0000000064D4: E05C1000 808344E2
	v_mfma_f32_16x16x32_fp8_fp8 v[8:11], a[46:47], a[6:7], v[8:11]// 0000000064DC: D3F30008 1C220D2E
	s_mul_i32 s54, s78, s51                                    // 0000000064E4: 9236334E
	s_add_u32 s69, s69, s54                                    // 0000000064E8: 80453645
	v_mfma_f32_16x16x32_fp8_fp8 v[12:15], a[48:49], a[0:1], 0  // 0000000064EC: D3F3000C 1A020130
	s_mov_b32 s70, s69                                         // 0000000064F4: BEC60045
	v_mfma_f32_16x16x32_fp8_fp8 v[12:15], a[50:51], a[2:3], v[12:15]// 0000000064F8: D3F3000C 1C320532
	s_mul_i32 s54, s78, 4                                      // 000000006500: 9236844E
	s_add_u32 s71, s71, s54                                    // 000000006504: 80473647
	v_mfma_f32_16x16x32_fp8_fp8 v[12:15], a[52:53], a[4:5], v[12:15]// 000000006508: D3F3000C 1C320934
	buffer_load_dwordx4 a[72:75], v225, s[12:15], 0 offen offset:1024// 000000006510: E05C1400 808348E1
	v_mfma_f32_16x16x32_fp8_fp8 v[12:15], a[54:55], a[6:7], v[12:15]// 000000006518: D3F3000C 1C320D36
	v_mfma_f32_16x16x32_fp8_fp8 v[16:19], a[56:57], a[0:1], 0  // 000000006520: D3F30010 1A020138
	v_mfma_f32_16x16x32_fp8_fp8 v[16:19], a[58:59], a[2:3], v[16:19]// 000000006528: D3F30010 1C42053A
	v_mfma_f32_16x16x32_fp8_fp8 v[16:19], a[60:61], a[4:5], v[16:19]// 000000006530: D3F30010 1C42093C
	buffer_load_dwordx4 a[76:79], v226, s[12:15], 0 offen offset:1024// 000000006538: E05C1400 80834CE2
	v_mfma_f32_16x16x32_fp8_fp8 v[16:19], a[62:63], a[6:7], v[16:19]// 000000006540: D3F30010 1C420D3E
	v_mfma_f32_16x16x32_fp8_fp8 v[20:23], a[32:33], a[8:9], 0  // 000000006548: D3F30014 1A021120
	v_mfma_f32_16x16x32_fp8_fp8 v[20:23], a[34:35], a[10:11], v[20:23]// 000000006550: D3F30014 1C521522
	v_mfma_f32_16x16x32_fp8_fp8 v[20:23], a[36:37], a[12:13], v[20:23]// 000000006558: D3F30014 1C521924
	buffer_load_dwordx4 a[80:83], v225, s[12:15], 0 offen offset:2048// 000000006560: E05C1800 808350E1
	v_mfma_f32_16x16x32_fp8_fp8 v[20:23], a[38:39], a[14:15], v[20:23]// 000000006568: D3F30014 1C521D26
	v_mfma_f32_16x16x32_fp8_fp8 v[24:27], a[40:41], a[8:9], 0  // 000000006570: D3F30018 1A021128
	v_mfma_f32_16x16x32_fp8_fp8 v[24:27], a[42:43], a[10:11], v[24:27]// 000000006578: D3F30018 1C62152A
	v_mfma_f32_16x16x32_fp8_fp8 v[24:27], a[44:45], a[12:13], v[24:27]// 000000006580: D3F30018 1C62192C
	buffer_load_dwordx4 a[84:87], v226, s[12:15], 0 offen offset:2048// 000000006588: E05C1800 808354E2
	v_mfma_f32_16x16x32_fp8_fp8 v[24:27], a[46:47], a[14:15], v[24:27]// 000000006590: D3F30018 1C621D2E
	v_mfma_f32_16x16x32_fp8_fp8 v[28:31], a[48:49], a[8:9], 0  // 000000006598: D3F3001C 1A021130
	v_mfma_f32_16x16x32_fp8_fp8 v[28:31], a[50:51], a[10:11], v[28:31]// 0000000065A0: D3F3001C 1C721532
	v_mfma_f32_16x16x32_fp8_fp8 v[28:31], a[52:53], a[12:13], v[28:31]// 0000000065A8: D3F3001C 1C721934
	buffer_load_dwordx4 a[88:91], v225, s[12:15], 0 offen offset:3072// 0000000065B0: E05C1C00 808358E1
	v_mfma_f32_16x16x32_fp8_fp8 v[28:31], a[54:55], a[14:15], v[28:31]// 0000000065B8: D3F3001C 1C721D36
	v_mfma_f32_16x16x32_fp8_fp8 v[32:35], a[56:57], a[8:9], 0  // 0000000065C0: D3F30020 1A021138
	v_mfma_f32_16x16x32_fp8_fp8 v[32:35], a[58:59], a[10:11], v[32:35]// 0000000065C8: D3F30020 1C82153A
	v_mfma_f32_16x16x32_fp8_fp8 v[32:35], a[60:61], a[12:13], v[32:35]// 0000000065D0: D3F30020 1C82193C
	buffer_load_dwordx4 a[92:95], v226, s[12:15], 0 offen offset:3072// 0000000065D8: E05C1C00 80835CE2
	v_mfma_f32_16x16x32_fp8_fp8 v[32:35], a[62:63], a[14:15], v[32:35]// 0000000065E0: D3F30020 1C821D3E
	v_mfma_f32_16x16x32_fp8_fp8 v[36:39], a[32:33], a[16:17], 0// 0000000065E8: D3F30024 1A022120
	v_mfma_f32_16x16x32_fp8_fp8 v[36:39], a[34:35], a[18:19], v[36:39]// 0000000065F0: D3F30024 1C922522
	v_mfma_f32_16x16x32_fp8_fp8 v[36:39], a[36:37], a[20:21], v[36:39]// 0000000065F8: D3F30024 1C922924
	v_mfma_f32_16x16x32_fp8_fp8 v[36:39], a[38:39], a[22:23], v[36:39]// 000000006600: D3F30024 1C922D26
	v_mfma_f32_16x16x32_fp8_fp8 v[40:43], a[40:41], a[16:17], 0// 000000006608: D3F30028 1A022128
	v_mfma_f32_16x16x32_fp8_fp8 v[40:43], a[42:43], a[18:19], v[40:43]// 000000006610: D3F30028 1CA2252A
	v_mfma_f32_16x16x32_fp8_fp8 v[40:43], a[44:45], a[20:21], v[40:43]// 000000006618: D3F30028 1CA2292C
	v_mfma_f32_16x16x32_fp8_fp8 v[40:43], a[46:47], a[22:23], v[40:43]// 000000006620: D3F30028 1CA22D2E
	v_mfma_f32_16x16x32_fp8_fp8 v[44:47], a[48:49], a[16:17], 0// 000000006628: D3F3002C 1A022130
	v_mfma_f32_16x16x32_fp8_fp8 v[44:47], a[50:51], a[18:19], v[44:47]// 000000006630: D3F3002C 1CB22532
	v_mfma_f32_16x16x32_fp8_fp8 v[44:47], a[52:53], a[20:21], v[44:47]// 000000006638: D3F3002C 1CB22934
	v_mfma_f32_16x16x32_fp8_fp8 v[44:47], a[54:55], a[22:23], v[44:47]// 000000006640: D3F3002C 1CB22D36
	v_mfma_f32_16x16x32_fp8_fp8 v[48:51], a[56:57], a[16:17], 0// 000000006648: D3F30030 1A022138
	v_mfma_f32_16x16x32_fp8_fp8 v[48:51], a[58:59], a[18:19], v[48:51]// 000000006650: D3F30030 1CC2253A
	v_mfma_f32_16x16x32_fp8_fp8 v[48:51], a[60:61], a[20:21], v[48:51]// 000000006658: D3F30030 1CC2293C
	v_mfma_f32_16x16x32_fp8_fp8 v[48:51], a[62:63], a[22:23], v[48:51]// 000000006660: D3F30030 1CC22D3E
	v_mfma_f32_16x16x32_fp8_fp8 v[52:55], a[32:33], a[24:25], 0// 000000006668: D3F30034 1A023120
	v_mfma_f32_16x16x32_fp8_fp8 v[52:55], a[34:35], a[26:27], v[52:55]// 000000006670: D3F30034 1CD23522
	v_mfma_f32_16x16x32_fp8_fp8 v[52:55], a[36:37], a[28:29], v[52:55]// 000000006678: D3F30034 1CD23924
	v_mfma_f32_16x16x32_fp8_fp8 v[52:55], a[38:39], a[30:31], v[52:55]// 000000006680: D3F30034 1CD23D26
	v_mfma_f32_16x16x32_fp8_fp8 v[56:59], a[40:41], a[24:25], 0// 000000006688: D3F30038 1A023128
	v_mfma_f32_16x16x32_fp8_fp8 v[56:59], a[42:43], a[26:27], v[56:59]// 000000006690: D3F30038 1CE2352A
	v_mfma_f32_16x16x32_fp8_fp8 v[56:59], a[44:45], a[28:29], v[56:59]// 000000006698: D3F30038 1CE2392C
	v_mfma_f32_16x16x32_fp8_fp8 v[56:59], a[46:47], a[30:31], v[56:59]// 0000000066A0: D3F30038 1CE23D2E
	v_mfma_f32_16x16x32_fp8_fp8 v[60:63], a[48:49], a[24:25], 0// 0000000066A8: D3F3003C 1A023130
	v_mfma_f32_16x16x32_fp8_fp8 v[60:63], a[50:51], a[26:27], v[60:63]// 0000000066B0: D3F3003C 1CF23532
	v_mfma_f32_16x16x32_fp8_fp8 v[60:63], a[52:53], a[28:29], v[60:63]// 0000000066B8: D3F3003C 1CF23934
	v_mfma_f32_16x16x32_fp8_fp8 v[60:63], a[54:55], a[30:31], v[60:63]// 0000000066C0: D3F3003C 1CF23D36
	v_mfma_f32_16x16x32_fp8_fp8 v[64:67], a[56:57], a[24:25], 0// 0000000066C8: D3F30040 1A023138
	v_mfma_f32_16x16x32_fp8_fp8 v[64:67], a[58:59], a[26:27], v[64:67]// 0000000066D0: D3F30040 1D02353A
	v_mfma_f32_16x16x32_fp8_fp8 v[64:67], a[60:61], a[28:29], v[64:67]// 0000000066D8: D3F30040 1D02393C
	v_mfma_f32_16x16x32_fp8_fp8 v[64:67], a[62:63], a[30:31], v[64:67]// 0000000066E0: D3F30040 1D023D3E
	s_waitcnt vmcnt(16)                                        // 0000000066E8: BF8C4F70
	v_pk_mul_f32 v[4:5], v[132:133], v[4:5]                    // 0000000066EC: D3B14004 18020984
	v_pk_mul_f32 v[6:7], v[132:133], v[6:7]                    // 0000000066F4: D3B14006 18020D84
	v_mul_f32_dpp v4, v140, v4 row_newbcast:0 row_mask:0xf bank_mask:0xf// 0000000066FC: 0A0808FA FF01508C
	v_mul_f32_dpp v5, v140, v5 row_newbcast:1 row_mask:0xf bank_mask:0xf// 000000006704: 0A0A0AFA FF01518C
	v_mul_f32_dpp v6, v140, v6 row_newbcast:2 row_mask:0xf bank_mask:0xf// 00000000670C: 0A0C0CFA FF01528C
	v_mul_f32_dpp v7, v140, v7 row_newbcast:3 row_mask:0xf bank_mask:0xf// 000000006714: 0A0E0EFA FF01538C
	v_pk_mul_f32 v[8:9], v[132:133], v[8:9]                    // 00000000671C: D3B14008 18021184
	v_pk_mul_f32 v[10:11], v[132:133], v[10:11]                // 000000006724: D3B1400A 18021584
	v_mul_f32_dpp v8, v140, v8 row_newbcast:4 row_mask:0xf bank_mask:0xf// 00000000672C: 0A1010FA FF01548C
	v_mul_f32_dpp v9, v140, v9 row_newbcast:5 row_mask:0xf bank_mask:0xf// 000000006734: 0A1212FA FF01558C
	v_mul_f32_dpp v10, v140, v10 row_newbcast:6 row_mask:0xf bank_mask:0xf// 00000000673C: 0A1414FA FF01568C
	v_mul_f32_dpp v11, v140, v11 row_newbcast:7 row_mask:0xf bank_mask:0xf// 000000006744: 0A1616FA FF01578C
	v_pk_mul_f32 v[12:13], v[132:133], v[12:13]                // 00000000674C: D3B1400C 18021984
	v_pk_mul_f32 v[14:15], v[132:133], v[14:15]                // 000000006754: D3B1400E 18021D84
	v_mul_f32_dpp v12, v140, v12 row_newbcast:8 row_mask:0xf bank_mask:0xf// 00000000675C: 0A1818FA FF01588C
	v_mul_f32_dpp v13, v140, v13 row_newbcast:9 row_mask:0xf bank_mask:0xf// 000000006764: 0A1A1AFA FF01598C
	v_mul_f32_dpp v14, v140, v14 row_newbcast:10 row_mask:0xf bank_mask:0xf// 00000000676C: 0A1C1CFA FF015A8C
	v_mul_f32_dpp v15, v140, v15 row_newbcast:11 row_mask:0xf bank_mask:0xf// 000000006774: 0A1E1EFA FF015B8C
	v_pk_mul_f32 v[16:17], v[132:133], v[16:17]                // 00000000677C: D3B14010 18022184
	v_pk_mul_f32 v[18:19], v[132:133], v[18:19]                // 000000006784: D3B14012 18022584
	v_mul_f32_dpp v16, v140, v16 row_newbcast:12 row_mask:0xf bank_mask:0xf// 00000000678C: 0A2020FA FF015C8C
	v_mul_f32_dpp v17, v140, v17 row_newbcast:13 row_mask:0xf bank_mask:0xf// 000000006794: 0A2222FA FF015D8C
	v_mul_f32_dpp v18, v140, v18 row_newbcast:14 row_mask:0xf bank_mask:0xf// 00000000679C: 0A2424FA FF015E8C
	v_mul_f32_dpp v19, v140, v19 row_newbcast:15 row_mask:0xf bank_mask:0xf// 0000000067A4: 0A2626FA FF015F8C
	v_pk_mul_f32 v[20:21], v[134:135], v[20:21]                // 0000000067AC: D3B14014 18022986
	v_pk_mul_f32 v[22:23], v[134:135], v[22:23]                // 0000000067B4: D3B14016 18022D86
	v_mul_f32_dpp v20, v140, v20 row_newbcast:0 row_mask:0xf bank_mask:0xf// 0000000067BC: 0A2828FA FF01508C
	v_mul_f32_dpp v21, v140, v21 row_newbcast:1 row_mask:0xf bank_mask:0xf// 0000000067C4: 0A2A2AFA FF01518C
	v_mul_f32_dpp v22, v140, v22 row_newbcast:2 row_mask:0xf bank_mask:0xf// 0000000067CC: 0A2C2CFA FF01528C
	v_mul_f32_dpp v23, v140, v23 row_newbcast:3 row_mask:0xf bank_mask:0xf// 0000000067D4: 0A2E2EFA FF01538C
	v_pk_mul_f32 v[24:25], v[134:135], v[24:25]                // 0000000067DC: D3B14018 18023186
	v_pk_mul_f32 v[26:27], v[134:135], v[26:27]                // 0000000067E4: D3B1401A 18023586
	v_mul_f32_dpp v24, v140, v24 row_newbcast:4 row_mask:0xf bank_mask:0xf// 0000000067EC: 0A3030FA FF01548C
	v_mul_f32_dpp v25, v140, v25 row_newbcast:5 row_mask:0xf bank_mask:0xf// 0000000067F4: 0A3232FA FF01558C
	v_mul_f32_dpp v26, v140, v26 row_newbcast:6 row_mask:0xf bank_mask:0xf// 0000000067FC: 0A3434FA FF01568C
	v_mul_f32_dpp v27, v140, v27 row_newbcast:7 row_mask:0xf bank_mask:0xf// 000000006804: 0A3636FA FF01578C
	v_pk_mul_f32 v[28:29], v[134:135], v[28:29]                // 00000000680C: D3B1401C 18023986
	v_pk_mul_f32 v[30:31], v[134:135], v[30:31]                // 000000006814: D3B1401E 18023D86
	v_mul_f32_dpp v28, v140, v28 row_newbcast:8 row_mask:0xf bank_mask:0xf// 00000000681C: 0A3838FA FF01588C
	v_mul_f32_dpp v29, v140, v29 row_newbcast:9 row_mask:0xf bank_mask:0xf// 000000006824: 0A3A3AFA FF01598C
	v_mul_f32_dpp v30, v140, v30 row_newbcast:10 row_mask:0xf bank_mask:0xf// 00000000682C: 0A3C3CFA FF015A8C
	v_mul_f32_dpp v31, v140, v31 row_newbcast:11 row_mask:0xf bank_mask:0xf// 000000006834: 0A3E3EFA FF015B8C
	v_pk_mul_f32 v[32:33], v[134:135], v[32:33]                // 00000000683C: D3B14020 18024186
	v_pk_mul_f32 v[34:35], v[134:135], v[34:35]                // 000000006844: D3B14022 18024586
	v_mul_f32_dpp v32, v140, v32 row_newbcast:12 row_mask:0xf bank_mask:0xf// 00000000684C: 0A4040FA FF015C8C
	v_mul_f32_dpp v33, v140, v33 row_newbcast:13 row_mask:0xf bank_mask:0xf// 000000006854: 0A4242FA FF015D8C
	v_mul_f32_dpp v34, v140, v34 row_newbcast:14 row_mask:0xf bank_mask:0xf// 00000000685C: 0A4444FA FF015E8C
	v_mul_f32_dpp v35, v140, v35 row_newbcast:15 row_mask:0xf bank_mask:0xf// 000000006864: 0A4646FA FF015F8C
	v_pk_mul_f32 v[36:37], v[136:137], v[36:37]                // 00000000686C: D3B14024 18024988
	v_pk_mul_f32 v[38:39], v[136:137], v[38:39]                // 000000006874: D3B14026 18024D88
	v_mul_f32_dpp v36, v140, v36 row_newbcast:0 row_mask:0xf bank_mask:0xf// 00000000687C: 0A4848FA FF01508C
	v_mul_f32_dpp v37, v140, v37 row_newbcast:1 row_mask:0xf bank_mask:0xf// 000000006884: 0A4A4AFA FF01518C
	v_mul_f32_dpp v38, v140, v38 row_newbcast:2 row_mask:0xf bank_mask:0xf// 00000000688C: 0A4C4CFA FF01528C
	v_mul_f32_dpp v39, v140, v39 row_newbcast:3 row_mask:0xf bank_mask:0xf// 000000006894: 0A4E4EFA FF01538C
	v_pk_mul_f32 v[40:41], v[136:137], v[40:41]                // 00000000689C: D3B14028 18025188
	v_pk_mul_f32 v[42:43], v[136:137], v[42:43]                // 0000000068A4: D3B1402A 18025588
	v_mul_f32_dpp v40, v140, v40 row_newbcast:4 row_mask:0xf bank_mask:0xf// 0000000068AC: 0A5050FA FF01548C
	v_mul_f32_dpp v41, v140, v41 row_newbcast:5 row_mask:0xf bank_mask:0xf// 0000000068B4: 0A5252FA FF01558C
	v_mul_f32_dpp v42, v140, v42 row_newbcast:6 row_mask:0xf bank_mask:0xf// 0000000068BC: 0A5454FA FF01568C
	v_mul_f32_dpp v43, v140, v43 row_newbcast:7 row_mask:0xf bank_mask:0xf// 0000000068C4: 0A5656FA FF01578C
	v_pk_mul_f32 v[44:45], v[136:137], v[44:45]                // 0000000068CC: D3B1402C 18025988
	v_pk_mul_f32 v[46:47], v[136:137], v[46:47]                // 0000000068D4: D3B1402E 18025D88
	v_mul_f32_dpp v44, v140, v44 row_newbcast:8 row_mask:0xf bank_mask:0xf// 0000000068DC: 0A5858FA FF01588C
	v_mul_f32_dpp v45, v140, v45 row_newbcast:9 row_mask:0xf bank_mask:0xf// 0000000068E4: 0A5A5AFA FF01598C
	v_mul_f32_dpp v46, v140, v46 row_newbcast:10 row_mask:0xf bank_mask:0xf// 0000000068EC: 0A5C5CFA FF015A8C
	v_mul_f32_dpp v47, v140, v47 row_newbcast:11 row_mask:0xf bank_mask:0xf// 0000000068F4: 0A5E5EFA FF015B8C
	v_pk_mul_f32 v[48:49], v[136:137], v[48:49]                // 0000000068FC: D3B14030 18026188
	v_pk_mul_f32 v[50:51], v[136:137], v[50:51]                // 000000006904: D3B14032 18026588
	v_mul_f32_dpp v48, v140, v48 row_newbcast:12 row_mask:0xf bank_mask:0xf// 00000000690C: 0A6060FA FF015C8C
	v_mul_f32_dpp v49, v140, v49 row_newbcast:13 row_mask:0xf bank_mask:0xf// 000000006914: 0A6262FA FF015D8C
	v_mul_f32_dpp v50, v140, v50 row_newbcast:14 row_mask:0xf bank_mask:0xf// 00000000691C: 0A6464FA FF015E8C
	v_mul_f32_dpp v51, v140, v51 row_newbcast:15 row_mask:0xf bank_mask:0xf// 000000006924: 0A6666FA FF015F8C
	v_pk_mul_f32 v[52:53], v[138:139], v[52:53]                // 00000000692C: D3B14034 1802698A
	v_pk_mul_f32 v[54:55], v[138:139], v[54:55]                // 000000006934: D3B14036 18026D8A
	v_mul_f32_dpp v52, v140, v52 row_newbcast:0 row_mask:0xf bank_mask:0xf// 00000000693C: 0A6868FA FF01508C
	v_mul_f32_dpp v53, v140, v53 row_newbcast:1 row_mask:0xf bank_mask:0xf// 000000006944: 0A6A6AFA FF01518C
	v_mul_f32_dpp v54, v140, v54 row_newbcast:2 row_mask:0xf bank_mask:0xf// 00000000694C: 0A6C6CFA FF01528C
	v_mul_f32_dpp v55, v140, v55 row_newbcast:3 row_mask:0xf bank_mask:0xf// 000000006954: 0A6E6EFA FF01538C
	v_pk_mul_f32 v[56:57], v[138:139], v[56:57]                // 00000000695C: D3B14038 1802718A
	v_pk_mul_f32 v[58:59], v[138:139], v[58:59]                // 000000006964: D3B1403A 1802758A
	v_mul_f32_dpp v56, v140, v56 row_newbcast:4 row_mask:0xf bank_mask:0xf// 00000000696C: 0A7070FA FF01548C
	v_mul_f32_dpp v57, v140, v57 row_newbcast:5 row_mask:0xf bank_mask:0xf// 000000006974: 0A7272FA FF01558C
	v_mul_f32_dpp v58, v140, v58 row_newbcast:6 row_mask:0xf bank_mask:0xf// 00000000697C: 0A7474FA FF01568C
	v_mul_f32_dpp v59, v140, v59 row_newbcast:7 row_mask:0xf bank_mask:0xf// 000000006984: 0A7676FA FF01578C
	v_pk_mul_f32 v[60:61], v[138:139], v[60:61]                // 00000000698C: D3B1403C 1802798A
	v_pk_mul_f32 v[62:63], v[138:139], v[62:63]                // 000000006994: D3B1403E 18027D8A
	v_mul_f32_dpp v60, v140, v60 row_newbcast:8 row_mask:0xf bank_mask:0xf// 00000000699C: 0A7878FA FF01588C
	v_mul_f32_dpp v61, v140, v61 row_newbcast:9 row_mask:0xf bank_mask:0xf// 0000000069A4: 0A7A7AFA FF01598C
	v_mul_f32_dpp v62, v140, v62 row_newbcast:10 row_mask:0xf bank_mask:0xf// 0000000069AC: 0A7C7CFA FF015A8C
	v_mul_f32_dpp v63, v140, v63 row_newbcast:11 row_mask:0xf bank_mask:0xf// 0000000069B4: 0A7E7EFA FF015B8C
	v_pk_mul_f32 v[64:65], v[138:139], v[64:65]                // 0000000069BC: D3B14040 1802818A
	v_pk_mul_f32 v[66:67], v[138:139], v[66:67]                // 0000000069C4: D3B14042 1802858A
	v_mul_f32_dpp v64, v140, v64 row_newbcast:12 row_mask:0xf bank_mask:0xf// 0000000069CC: 0A8080FA FF015C8C
	v_mul_f32_dpp v65, v140, v65 row_newbcast:13 row_mask:0xf bank_mask:0xf// 0000000069D4: 0A8282FA FF015D8C
	v_mul_f32_dpp v66, v140, v66 row_newbcast:14 row_mask:0xf bank_mask:0xf// 0000000069DC: 0A8484FA FF015E8C
	v_mul_f32_dpp v67, v140, v67 row_newbcast:15 row_mask:0xf bank_mask:0xf// 0000000069E4: 0A8686FA FF015F8C
	v_mov_b32_e32 v176, v4                                     // 0000000069EC: 7F600304
	v_max3_f32 v176, v4, v5, v176                              // 0000000069F0: D1D300B0 06C20B04
	v_max3_f32 v176, v6, v7, v176                              // 0000000069F8: D1D300B0 06C20F06
	v_max3_f32 v176, v8, v9, v176                              // 000000006A00: D1D300B0 06C21308
	v_max3_f32 v176, v10, v11, v176                            // 000000006A08: D1D300B0 06C2170A
	v_max3_f32 v176, v12, v13, v176                            // 000000006A10: D1D300B0 06C21B0C
	v_max3_f32 v176, v14, v15, v176                            // 000000006A18: D1D300B0 06C21F0E
	v_max3_f32 v176, v16, v17, v176                            // 000000006A20: D1D300B0 06C22310
	v_max3_f32 v176, v18, v19, v176                            // 000000006A28: D1D300B0 06C22712
	v_mov_b32_e32 v177, v20                                    // 000000006A30: 7F620314
	v_max3_f32 v177, v20, v21, v177                            // 000000006A34: D1D300B1 06C62B14
	v_max3_f32 v177, v22, v23, v177                            // 000000006A3C: D1D300B1 06C62F16
	v_max3_f32 v177, v24, v25, v177                            // 000000006A44: D1D300B1 06C63318
	v_max3_f32 v177, v26, v27, v177                            // 000000006A4C: D1D300B1 06C6371A
	v_max3_f32 v177, v28, v29, v177                            // 000000006A54: D1D300B1 06C63B1C
	v_max3_f32 v177, v30, v31, v177                            // 000000006A5C: D1D300B1 06C63F1E
	v_max3_f32 v177, v32, v33, v177                            // 000000006A64: D1D300B1 06C64320
	v_max3_f32 v177, v34, v35, v177                            // 000000006A6C: D1D300B1 06C64722
	v_mov_b32_e32 v178, v36                                    // 000000006A74: 7F640324
	v_max3_f32 v178, v36, v37, v178                            // 000000006A78: D1D300B2 06CA4B24
	v_max3_f32 v178, v38, v39, v178                            // 000000006A80: D1D300B2 06CA4F26
	v_max3_f32 v178, v40, v41, v178                            // 000000006A88: D1D300B2 06CA5328
	v_max3_f32 v178, v42, v43, v178                            // 000000006A90: D1D300B2 06CA572A
	v_max3_f32 v178, v44, v45, v178                            // 000000006A98: D1D300B2 06CA5B2C
	v_max3_f32 v178, v46, v47, v178                            // 000000006AA0: D1D300B2 06CA5F2E
	v_max3_f32 v178, v48, v49, v178                            // 000000006AA8: D1D300B2 06CA6330
	v_max3_f32 v178, v50, v51, v178                            // 000000006AB0: D1D300B2 06CA6732
	v_mov_b32_e32 v179, v52                                    // 000000006AB8: 7F660334
	v_max3_f32 v179, v52, v53, v179                            // 000000006ABC: D1D300B3 06CE6B34
	v_max3_f32 v179, v54, v55, v179                            // 000000006AC4: D1D300B3 06CE6F36
	v_max3_f32 v179, v56, v57, v179                            // 000000006ACC: D1D300B3 06CE7338
	v_max3_f32 v179, v58, v59, v179                            // 000000006AD4: D1D300B3 06CE773A
	v_max3_f32 v179, v60, v61, v179                            // 000000006ADC: D1D300B3 06CE7B3C
	v_max3_f32 v179, v62, v63, v179                            // 000000006AE4: D1D300B3 06CE7F3E
	v_max3_f32 v179, v64, v65, v179                            // 000000006AEC: D1D300B3 06CE8340
	v_max3_f32 v179, v66, v67, v179                            // 000000006AF4: D1D300B3 06CE8742
	ds_bpermute_b32 v180, v200, v176                           // 000000006AFC: D87E0000 B400B0C8
	ds_bpermute_b32 v181, v201, v176                           // 000000006B04: D87E0000 B500B0C9
	ds_bpermute_b32 v182, v202, v176                           // 000000006B0C: D87E0000 B600B0CA
	ds_bpermute_b32 v183, v200, v177                           // 000000006B14: D87E0000 B700B1C8
	ds_bpermute_b32 v184, v201, v177                           // 000000006B1C: D87E0000 B800B1C9
	ds_bpermute_b32 v185, v202, v177                           // 000000006B24: D87E0000 B900B1CA
	ds_bpermute_b32 v186, v200, v178                           // 000000006B2C: D87E0000 BA00B2C8
	ds_bpermute_b32 v187, v201, v178                           // 000000006B34: D87E0000 BB00B2C9
	ds_bpermute_b32 v188, v202, v178                           // 000000006B3C: D87E0000 BC00B2CA
	ds_bpermute_b32 v189, v200, v179                           // 000000006B44: D87E0000 BD00B3C8
	ds_bpermute_b32 v190, v201, v179                           // 000000006B4C: D87E0000 BE00B3C9
	ds_bpermute_b32 v191, v202, v179                           // 000000006B54: D87E0000 BF00B3CA
	v_pk_mul_f32 v[100:101], v[160:161], v[100:101]            // 000000006B5C: D3B14064 1802C9A0
	v_pk_mul_f32 v[102:103], v[160:161], v[102:103]            // 000000006B64: D3B14066 1802CDA0
	v_pk_mul_f32 v[104:105], v[160:161], v[104:105]            // 000000006B6C: D3B14068 1802D1A0
	v_pk_mul_f32 v[106:107], v[160:161], v[106:107]            // 000000006B74: D3B1406A 1802D5A0
	v_pk_mul_f32 v[108:109], v[162:163], v[108:109]            // 000000006B7C: D3B1406C 1802D9A2
	v_pk_mul_f32 v[110:111], v[162:163], v[110:111]            // 000000006B84: D3B1406E 1802DDA2
	v_pk_mul_f32 v[112:113], v[162:163], v[112:113]            // 000000006B8C: D3B14070 1802E1A2
	v_pk_mul_f32 v[114:115], v[162:163], v[114:115]            // 000000006B94: D3B14072 1802E5A2
	v_pk_mul_f32 v[116:117], v[164:165], v[116:117]            // 000000006B9C: D3B14074 1802E9A4
	v_pk_mul_f32 v[118:119], v[164:165], v[118:119]            // 000000006BA4: D3B14076 1802EDA4
	v_pk_mul_f32 v[120:121], v[164:165], v[120:121]            // 000000006BAC: D3B14078 1802F1A4
	v_pk_mul_f32 v[122:123], v[164:165], v[122:123]            // 000000006BB4: D3B1407A 1802F5A4
	v_pk_mul_f32 v[124:125], v[166:167], v[124:125]            // 000000006BBC: D3B1407C 1802F9A6
	v_pk_mul_f32 v[126:127], v[166:167], v[126:127]            // 000000006BC4: D3B1407E 1802FDA6
	v_pk_mul_f32 v[128:129], v[166:167], v[128:129]            // 000000006BCC: D3B14080 180301A6
	v_pk_mul_f32 v[130:131], v[166:167], v[130:131]            // 000000006BD4: D3B14082 180305A6
	s_waitcnt lgkmcnt(9)                                       // 000000006BDC: BF8CC97F
	v_max3_f32 v176, v180, v181, v176                          // 000000006BE0: D1D300B0 06C36BB4
	v_max_f32_e32 v176, v182, v176                             // 000000006BE8: 176161B6
	s_waitcnt lgkmcnt(6)                                       // 000000006BEC: BF8CC67F
	v_max3_f32 v177, v183, v184, v177                          // 000000006BF0: D1D300B1 06C771B7
	v_max_f32_e32 v177, v185, v177                             // 000000006BF8: 176363B9
	s_waitcnt lgkmcnt(3)                                       // 000000006BFC: BF8CC37F
	v_max3_f32 v178, v186, v187, v178                          // 000000006C00: D1D300B2 06CB77BA
	v_max_f32_e32 v178, v188, v178                             // 000000006C08: 176565BC
	s_waitcnt lgkmcnt(0)                                       // 000000006C0C: BF8CC07F
	v_max3_f32 v179, v189, v190, v179                          // 000000006C10: D1D300B3 06CF7DBD
	v_max_f32_e32 v179, v191, v179                             // 000000006C18: 176767BF
	ds_write_b128 v247, v[176:179]                             // 000000006C1C: D9BE0000 0000B0F7
	s_waitcnt lgkmcnt(0)                                       // 000000006C24: BF8CC07F
	s_barrier                                                  // 000000006C28: BF8A0000
	ds_read_b128 v[180:183], v248                              // 000000006C2C: D9FE0000 B40000F8
	ds_read_b128 v[184:187], v248 offset:256                   // 000000006C34: D9FE0100 B80000F8
	ds_read_b128 v[188:191], v248 offset:512                   // 000000006C3C: D9FE0200 BC0000F8
	ds_read_b128 v[192:195], v248 offset:768                   // 000000006C44: D9FE0300 C00000F8
	v_pk_mul_f32 v[68:69], v[144:145], v[68:69]                // 000000006C4C: D3B14044 18028990
	v_pk_mul_f32 v[70:71], v[144:145], v[70:71]                // 000000006C54: D3B14046 18028D90
	v_pk_mul_f32 v[72:73], v[144:145], v[72:73]                // 000000006C5C: D3B14048 18029190
	v_pk_mul_f32 v[74:75], v[144:145], v[74:75]                // 000000006C64: D3B1404A 18029590
	v_pk_mul_f32 v[76:77], v[146:147], v[76:77]                // 000000006C6C: D3B1404C 18029992
	v_pk_mul_f32 v[78:79], v[146:147], v[78:79]                // 000000006C74: D3B1404E 18029D92
	v_pk_mul_f32 v[80:81], v[146:147], v[80:81]                // 000000006C7C: D3B14050 1802A192
	v_pk_mul_f32 v[82:83], v[146:147], v[82:83]                // 000000006C84: D3B14052 1802A592
	v_pk_mul_f32 v[84:85], v[148:149], v[84:85]                // 000000006C8C: D3B14054 1802A994
	v_pk_mul_f32 v[86:87], v[148:149], v[86:87]                // 000000006C94: D3B14056 1802AD94
	v_pk_mul_f32 v[88:89], v[148:149], v[88:89]                // 000000006C9C: D3B14058 1802B194
	v_pk_mul_f32 v[90:91], v[148:149], v[90:91]                // 000000006CA4: D3B1405A 1802B594
	v_pk_mul_f32 v[92:93], v[150:151], v[92:93]                // 000000006CAC: D3B1405C 1802B996
	v_pk_mul_f32 v[94:95], v[150:151], v[94:95]                // 000000006CB4: D3B1405E 1802BD96
	v_pk_mul_f32 v[96:97], v[150:151], v[96:97]                // 000000006CBC: D3B14060 1802C196
	v_pk_mul_f32 v[98:99], v[150:151], v[98:99]                // 000000006CC4: D3B14062 1802C596
	s_waitcnt lgkmcnt(0)                                       // 000000006CCC: BF8CC07F
	v_max3_f32 v176, v180, v184, v176                          // 000000006CD0: D1D300B0 06C371B4
	v_max3_f32 v177, v181, v185, v177                          // 000000006CD8: D1D300B1 06C773B5
	v_max3_f32 v178, v182, v186, v178                          // 000000006CE0: D1D300B2 06CB75B6
	v_max3_f32 v179, v183, v187, v179                          // 000000006CE8: D1D300B3 06CF77B7
	v_max3_f32 v176, v188, v192, v176                          // 000000006CF0: D1D300B0 06C381BC
	v_max3_f32 v177, v189, v193, v177                          // 000000006CF8: D1D300B1 06C783BD
	v_max3_f32 v178, v190, v194, v178                          // 000000006D00: D1D300B2 06CB85BE
	v_max3_f32 v179, v191, v195, v179                          // 000000006D08: D1D300B3 06CF87BF
	v_max_f32_e32 v156, v176, v152                             // 000000006D10: 173931B0
	v_mul_f32_e64 v196, -s46, v156                             // 000000006D14: D10500C4 2003382E
	v_mov_b32_e32 v197, v196                                   // 000000006D1C: 7F8A03C4
	v_pk_fma_f32 v[4:5], v[4:5], s[46:47], v[196:197]          // 000000006D20: D3B04004 1F105D04
	v_pk_fma_f32 v[6:7], v[6:7], s[46:47], v[196:197]          // 000000006D28: D3B04006 1F105D06
	v_exp_f32_e32 v4, v4                                       // 000000006D30: 7E084104
	v_exp_f32_e32 v5, v5                                       // 000000006D34: 7E0A4105
	v_exp_f32_e32 v6, v6                                       // 000000006D38: 7E0C4106
	v_exp_f32_e32 v7, v7                                       // 000000006D3C: 7E0E4107
	v_pk_fma_f32 v[8:9], v[8:9], s[46:47], v[196:197]          // 000000006D40: D3B04008 1F105D08
	v_pk_fma_f32 v[10:11], v[10:11], s[46:47], v[196:197]      // 000000006D48: D3B0400A 1F105D0A
	v_exp_f32_e32 v8, v8                                       // 000000006D50: 7E104108
	v_exp_f32_e32 v9, v9                                       // 000000006D54: 7E124109
	v_exp_f32_e32 v10, v10                                     // 000000006D58: 7E14410A
	v_exp_f32_e32 v11, v11                                     // 000000006D5C: 7E16410B
	v_pk_fma_f32 v[12:13], v[12:13], s[46:47], v[196:197]      // 000000006D60: D3B0400C 1F105D0C
	v_pk_fma_f32 v[14:15], v[14:15], s[46:47], v[196:197]      // 000000006D68: D3B0400E 1F105D0E
	v_exp_f32_e32 v12, v12                                     // 000000006D70: 7E18410C
	v_exp_f32_e32 v13, v13                                     // 000000006D74: 7E1A410D
	v_exp_f32_e32 v14, v14                                     // 000000006D78: 7E1C410E
	v_exp_f32_e32 v15, v15                                     // 000000006D7C: 7E1E410F
	v_pk_fma_f32 v[16:17], v[16:17], s[46:47], v[196:197]      // 000000006D80: D3B04010 1F105D10
	v_pk_fma_f32 v[18:19], v[18:19], s[46:47], v[196:197]      // 000000006D88: D3B04012 1F105D12
	v_exp_f32_e32 v16, v16                                     // 000000006D90: 7E204110
	v_exp_f32_e32 v17, v17                                     // 000000006D94: 7E224111
	v_exp_f32_e32 v18, v18                                     // 000000006D98: 7E244112
	v_exp_f32_e32 v19, v19                                     // 000000006D9C: 7E264113
	v_max_f32_e32 v157, v177, v153                             // 000000006DA0: 173B33B1
	v_mul_f32_e64 v196, -s46, v157                             // 000000006DA4: D10500C4 20033A2E
	v_mov_b32_e32 v197, v196                                   // 000000006DAC: 7F8A03C4
	v_pk_fma_f32 v[20:21], v[20:21], s[46:47], v[196:197]      // 000000006DB0: D3B04014 1F105D14
	v_pk_fma_f32 v[22:23], v[22:23], s[46:47], v[196:197]      // 000000006DB8: D3B04016 1F105D16
	v_exp_f32_e32 v20, v20                                     // 000000006DC0: 7E284114
	v_exp_f32_e32 v21, v21                                     // 000000006DC4: 7E2A4115
	v_exp_f32_e32 v22, v22                                     // 000000006DC8: 7E2C4116
	v_exp_f32_e32 v23, v23                                     // 000000006DCC: 7E2E4117
	v_pk_fma_f32 v[24:25], v[24:25], s[46:47], v[196:197]      // 000000006DD0: D3B04018 1F105D18
	v_pk_fma_f32 v[26:27], v[26:27], s[46:47], v[196:197]      // 000000006DD8: D3B0401A 1F105D1A
	v_exp_f32_e32 v24, v24                                     // 000000006DE0: 7E304118
	v_exp_f32_e32 v25, v25                                     // 000000006DE4: 7E324119
	v_exp_f32_e32 v26, v26                                     // 000000006DE8: 7E34411A
	v_exp_f32_e32 v27, v27                                     // 000000006DEC: 7E36411B
	v_pk_fma_f32 v[28:29], v[28:29], s[46:47], v[196:197]      // 000000006DF0: D3B0401C 1F105D1C
	v_pk_fma_f32 v[30:31], v[30:31], s[46:47], v[196:197]      // 000000006DF8: D3B0401E 1F105D1E
	v_exp_f32_e32 v28, v28                                     // 000000006E00: 7E38411C
	v_exp_f32_e32 v29, v29                                     // 000000006E04: 7E3A411D
	v_exp_f32_e32 v30, v30                                     // 000000006E08: 7E3C411E
	v_exp_f32_e32 v31, v31                                     // 000000006E0C: 7E3E411F
	v_pk_fma_f32 v[32:33], v[32:33], s[46:47], v[196:197]      // 000000006E10: D3B04020 1F105D20
	v_pk_fma_f32 v[34:35], v[34:35], s[46:47], v[196:197]      // 000000006E18: D3B04022 1F105D22
	v_exp_f32_e32 v32, v32                                     // 000000006E20: 7E404120
	v_exp_f32_e32 v33, v33                                     // 000000006E24: 7E424121
	v_exp_f32_e32 v34, v34                                     // 000000006E28: 7E444122
	v_exp_f32_e32 v35, v35                                     // 000000006E2C: 7E464123
	v_max_f32_e32 v158, v178, v154                             // 000000006E30: 173D35B2
	v_mul_f32_e64 v196, -s46, v158                             // 000000006E34: D10500C4 20033C2E
	v_mov_b32_e32 v197, v196                                   // 000000006E3C: 7F8A03C4
	v_pk_fma_f32 v[36:37], v[36:37], s[46:47], v[196:197]      // 000000006E40: D3B04024 1F105D24
	v_pk_fma_f32 v[38:39], v[38:39], s[46:47], v[196:197]      // 000000006E48: D3B04026 1F105D26
	v_exp_f32_e32 v36, v36                                     // 000000006E50: 7E484124
	v_exp_f32_e32 v37, v37                                     // 000000006E54: 7E4A4125
	v_exp_f32_e32 v38, v38                                     // 000000006E58: 7E4C4126
	v_exp_f32_e32 v39, v39                                     // 000000006E5C: 7E4E4127
	v_pk_fma_f32 v[40:41], v[40:41], s[46:47], v[196:197]      // 000000006E60: D3B04028 1F105D28
	v_pk_fma_f32 v[42:43], v[42:43], s[46:47], v[196:197]      // 000000006E68: D3B0402A 1F105D2A
	v_exp_f32_e32 v40, v40                                     // 000000006E70: 7E504128
	v_exp_f32_e32 v41, v41                                     // 000000006E74: 7E524129
	v_exp_f32_e32 v42, v42                                     // 000000006E78: 7E54412A
	v_exp_f32_e32 v43, v43                                     // 000000006E7C: 7E56412B
	v_pk_fma_f32 v[44:45], v[44:45], s[46:47], v[196:197]      // 000000006E80: D3B0402C 1F105D2C
	v_pk_fma_f32 v[46:47], v[46:47], s[46:47], v[196:197]      // 000000006E88: D3B0402E 1F105D2E
	v_exp_f32_e32 v44, v44                                     // 000000006E90: 7E58412C
	v_exp_f32_e32 v45, v45                                     // 000000006E94: 7E5A412D
	v_exp_f32_e32 v46, v46                                     // 000000006E98: 7E5C412E
	v_exp_f32_e32 v47, v47                                     // 000000006E9C: 7E5E412F
	v_pk_fma_f32 v[48:49], v[48:49], s[46:47], v[196:197]      // 000000006EA0: D3B04030 1F105D30
	v_pk_fma_f32 v[50:51], v[50:51], s[46:47], v[196:197]      // 000000006EA8: D3B04032 1F105D32
	v_exp_f32_e32 v48, v48                                     // 000000006EB0: 7E604130
	v_exp_f32_e32 v49, v49                                     // 000000006EB4: 7E624131
	v_exp_f32_e32 v50, v50                                     // 000000006EB8: 7E644132
	v_exp_f32_e32 v51, v51                                     // 000000006EBC: 7E664133
	v_max_f32_e32 v159, v179, v155                             // 000000006EC0: 173F37B3
	v_mul_f32_e64 v196, -s46, v159                             // 000000006EC4: D10500C4 20033E2E
	v_mov_b32_e32 v197, v196                                   // 000000006ECC: 7F8A03C4
	v_pk_fma_f32 v[52:53], v[52:53], s[46:47], v[196:197]      // 000000006ED0: D3B04034 1F105D34
	v_pk_fma_f32 v[54:55], v[54:55], s[46:47], v[196:197]      // 000000006ED8: D3B04036 1F105D36
	v_exp_f32_e32 v52, v52                                     // 000000006EE0: 7E684134
	v_exp_f32_e32 v53, v53                                     // 000000006EE4: 7E6A4135
	v_exp_f32_e32 v54, v54                                     // 000000006EE8: 7E6C4136
	v_exp_f32_e32 v55, v55                                     // 000000006EEC: 7E6E4137
	v_pk_fma_f32 v[56:57], v[56:57], s[46:47], v[196:197]      // 000000006EF0: D3B04038 1F105D38
	v_pk_fma_f32 v[58:59], v[58:59], s[46:47], v[196:197]      // 000000006EF8: D3B0403A 1F105D3A
	v_exp_f32_e32 v56, v56                                     // 000000006F00: 7E704138
	v_exp_f32_e32 v57, v57                                     // 000000006F04: 7E724139
	v_exp_f32_e32 v58, v58                                     // 000000006F08: 7E74413A
	v_exp_f32_e32 v59, v59                                     // 000000006F0C: 7E76413B
	v_pk_fma_f32 v[60:61], v[60:61], s[46:47], v[196:197]      // 000000006F10: D3B0403C 1F105D3C
	v_pk_fma_f32 v[62:63], v[62:63], s[46:47], v[196:197]      // 000000006F18: D3B0403E 1F105D3E
	v_exp_f32_e32 v60, v60                                     // 000000006F20: 7E78413C
	v_exp_f32_e32 v61, v61                                     // 000000006F24: 7E7A413D
	v_exp_f32_e32 v62, v62                                     // 000000006F28: 7E7C413E
	v_exp_f32_e32 v63, v63                                     // 000000006F2C: 7E7E413F
	v_pk_fma_f32 v[64:65], v[64:65], s[46:47], v[196:197]      // 000000006F30: D3B04040 1F105D40
	v_pk_fma_f32 v[66:67], v[66:67], s[46:47], v[196:197]      // 000000006F38: D3B04042 1F105D42
	v_exp_f32_e32 v64, v64                                     // 000000006F40: 7E804140
	v_exp_f32_e32 v65, v65                                     // 000000006F44: 7E824141
	v_exp_f32_e32 v66, v66                                     // 000000006F48: 7E844142
	v_exp_f32_e32 v67, v67                                     // 000000006F4C: 7E864143
	v_sub_f32_e32 v160, v152, v156                             // 000000006F50: 05413998
	v_cmp_eq_u32_e64 s[98:99], v216, v152                      // 000000006F54: D0CA0062 000331D8
	v_cndmask_b32_e64 v160, v160, 0, s[98:99]                  // 000000006F5C: D10000A0 018901A0
	v_mov_b32_e32 v152, v156                                   // 000000006F64: 7F30039C
	v_mul_f32_e32 v160, s46, v160                              // 000000006F68: 0B41402E
	v_exp_f32_e32 v160, v160                                   // 000000006F6C: 7F4041A0
	v_sub_f32_e32 v162, v153, v157                             // 000000006F70: 05453B99
	v_cmp_eq_u32_e64 s[98:99], v216, v153                      // 000000006F74: D0CA0062 000333D8
	v_cndmask_b32_e64 v162, v162, 0, s[98:99]                  // 000000006F7C: D10000A2 018901A2
	v_mov_b32_e32 v153, v157                                   // 000000006F84: 7F32039D
	v_mul_f32_e32 v162, s46, v162                              // 000000006F88: 0B45442E
	v_exp_f32_e32 v162, v162                                   // 000000006F8C: 7F4441A2
	v_sub_f32_e32 v164, v154, v158                             // 000000006F90: 05493D9A
	v_cmp_eq_u32_e64 s[98:99], v216, v154                      // 000000006F94: D0CA0062 000335D8
	v_cndmask_b32_e64 v164, v164, 0, s[98:99]                  // 000000006F9C: D10000A4 018901A4
	v_mov_b32_e32 v154, v158                                   // 000000006FA4: 7F34039E
	v_mul_f32_e32 v164, s46, v164                              // 000000006FA8: 0B49482E
	v_exp_f32_e32 v164, v164                                   // 000000006FAC: 7F4841A4
	v_sub_f32_e32 v166, v155, v159                             // 000000006FB0: 054D3F9B
	v_cmp_eq_u32_e64 s[98:99], v216, v155                      // 000000006FB4: D0CA0062 000337D8
	v_cndmask_b32_e64 v166, v166, 0, s[98:99]                  // 000000006FBC: D10000A6 018901A6
	v_mov_b32_e32 v155, v159                                   // 000000006FC4: 7F36039F
	v_mul_f32_e32 v166, s46, v166                              // 000000006FC8: 0B4D4C2E
	v_exp_f32_e32 v166, v166                                   // 000000006FCC: 7F4C41A6
	v_mov_b32_e32 v161, v160                                   // 000000006FD0: 7F4203A0
	v_mov_b32_e32 v163, v162                                   // 000000006FD4: 7F4603A2
	v_mov_b32_e32 v165, v164                                   // 000000006FD8: 7F4A03A4
	v_mov_b32_e32 v167, v166                                   // 000000006FDC: 7F4E03A6
	v_mul_f32_e32 v168, v160, v168                             // 000000006FE0: 0B5151A0
	v_mov_b32_e32 v169, 0                                      // 000000006FE4: 7F520280
	v_pk_add_f32 v[168:169], v[4:5], v[168:169]                // 000000006FE8: D3B240A8 18035104
	v_pk_add_f32 v[168:169], v[6:7], v[168:169]                // 000000006FF0: D3B240A8 18035106
	v_pk_add_f32 v[168:169], v[8:9], v[168:169]                // 000000006FF8: D3B240A8 18035108
	v_pk_add_f32 v[168:169], v[10:11], v[168:169]              // 000000007000: D3B240A8 1803510A
	v_pk_add_f32 v[168:169], v[12:13], v[168:169]              // 000000007008: D3B240A8 1803510C
	v_pk_add_f32 v[168:169], v[14:15], v[168:169]              // 000000007010: D3B240A8 1803510E
	v_pk_add_f32 v[168:169], v[16:17], v[168:169]              // 000000007018: D3B240A8 18035110
	v_pk_add_f32 v[168:169], v[18:19], v[168:169]              // 000000007020: D3B240A8 18035112
	v_add_f32_e32 v168, v169, v168                             // 000000007028: 035151A9
	v_mul_f32_e32 v170, v162, v170                             // 00000000702C: 0B5555A2
	v_mov_b32_e32 v171, 0                                      // 000000007030: 7F560280
	v_pk_add_f32 v[170:171], v[20:21], v[170:171]              // 000000007034: D3B240AA 18035514
	v_pk_add_f32 v[170:171], v[22:23], v[170:171]              // 00000000703C: D3B240AA 18035516
	v_pk_add_f32 v[170:171], v[24:25], v[170:171]              // 000000007044: D3B240AA 18035518
	v_pk_add_f32 v[170:171], v[26:27], v[170:171]              // 00000000704C: D3B240AA 1803551A
	v_pk_add_f32 v[170:171], v[28:29], v[170:171]              // 000000007054: D3B240AA 1803551C
	v_pk_add_f32 v[170:171], v[30:31], v[170:171]              // 00000000705C: D3B240AA 1803551E
	v_pk_add_f32 v[170:171], v[32:33], v[170:171]              // 000000007064: D3B240AA 18035520
	v_pk_add_f32 v[170:171], v[34:35], v[170:171]              // 00000000706C: D3B240AA 18035522
	v_add_f32_e32 v170, v171, v170                             // 000000007074: 035555AB
	v_mul_f32_e32 v172, v164, v172                             // 000000007078: 0B5959A4
	v_mov_b32_e32 v173, 0                                      // 00000000707C: 7F5A0280
	v_pk_add_f32 v[172:173], v[36:37], v[172:173]              // 000000007080: D3B240AC 18035924
	v_pk_add_f32 v[172:173], v[38:39], v[172:173]              // 000000007088: D3B240AC 18035926
	;; [unrolled: 1-line block ×3, first 2 shown]
	v_pk_add_f32 v[172:173], v[42:43], v[172:173]              // 000000007098: D3B240AC 1803592A
	v_pk_add_f32 v[172:173], v[44:45], v[172:173]              // 0000000070A0: D3B240AC 1803592C
	v_pk_add_f32 v[172:173], v[46:47], v[172:173]              // 0000000070A8: D3B240AC 1803592E
	v_pk_add_f32 v[172:173], v[48:49], v[172:173]              // 0000000070B0: D3B240AC 18035930
	v_pk_add_f32 v[172:173], v[50:51], v[172:173]              // 0000000070B8: D3B240AC 18035932
	v_add_f32_e32 v172, v173, v172                             // 0000000070C0: 035959AD
	v_mul_f32_e32 v174, v166, v174                             // 0000000070C4: 0B5D5DA6
	v_mov_b32_e32 v175, 0                                      // 0000000070C8: 7F5E0280
	v_pk_add_f32 v[174:175], v[52:53], v[174:175]              // 0000000070CC: D3B240AE 18035D34
	v_pk_add_f32 v[174:175], v[54:55], v[174:175]              // 0000000070D4: D3B240AE 18035D36
	v_pk_add_f32 v[174:175], v[56:57], v[174:175]              // 0000000070DC: D3B240AE 18035D38
	v_pk_add_f32 v[174:175], v[58:59], v[174:175]              // 0000000070E4: D3B240AE 18035D3A
	v_pk_add_f32 v[174:175], v[60:61], v[174:175]              // 0000000070EC: D3B240AE 18035D3C
	v_pk_add_f32 v[174:175], v[62:63], v[174:175]              // 0000000070F4: D3B240AE 18035D3E
	v_pk_add_f32 v[174:175], v[64:65], v[174:175]              // 0000000070FC: D3B240AE 18035D40
	v_pk_add_f32 v[174:175], v[66:67], v[174:175]              // 000000007104: D3B240AE 18035D42
	v_add_f32_e32 v174, v175, v174                             // 00000000710C: 035D5DAF
	v_mul_f32_dpp v4, v142, v4 row_newbcast:0 row_mask:0xf bank_mask:0xf// 000000007110: 0A0808FA FF01508E
	v_mul_f32_dpp v5, v142, v5 row_newbcast:1 row_mask:0xf bank_mask:0xf// 000000007118: 0A0A0AFA FF01518E
	v_mul_f32_dpp v6, v142, v6 row_newbcast:2 row_mask:0xf bank_mask:0xf// 000000007120: 0A0C0CFA FF01528E
	v_mul_f32_dpp v7, v142, v7 row_newbcast:3 row_mask:0xf bank_mask:0xf// 000000007128: 0A0E0EFA FF01538E
	v_mul_f32_dpp v8, v142, v8 row_newbcast:4 row_mask:0xf bank_mask:0xf// 000000007130: 0A1010FA FF01548E
	v_mul_f32_dpp v9, v142, v9 row_newbcast:5 row_mask:0xf bank_mask:0xf// 000000007138: 0A1212FA FF01558E
	v_mul_f32_dpp v10, v142, v10 row_newbcast:6 row_mask:0xf bank_mask:0xf// 000000007140: 0A1414FA FF01568E
	v_mul_f32_dpp v11, v142, v11 row_newbcast:7 row_mask:0xf bank_mask:0xf// 000000007148: 0A1616FA FF01578E
	v_mul_f32_dpp v12, v142, v12 row_newbcast:8 row_mask:0xf bank_mask:0xf// 000000007150: 0A1818FA FF01588E
	v_mul_f32_dpp v13, v142, v13 row_newbcast:9 row_mask:0xf bank_mask:0xf// 000000007158: 0A1A1AFA FF01598E
	v_mul_f32_dpp v14, v142, v14 row_newbcast:10 row_mask:0xf bank_mask:0xf// 000000007160: 0A1C1CFA FF015A8E
	v_mul_f32_dpp v15, v142, v15 row_newbcast:11 row_mask:0xf bank_mask:0xf// 000000007168: 0A1E1EFA FF015B8E
	v_mul_f32_dpp v16, v142, v16 row_newbcast:12 row_mask:0xf bank_mask:0xf// 000000007170: 0A2020FA FF015C8E
	v_mul_f32_dpp v17, v142, v17 row_newbcast:13 row_mask:0xf bank_mask:0xf// 000000007178: 0A2222FA FF015D8E
	v_mul_f32_dpp v18, v142, v18 row_newbcast:14 row_mask:0xf bank_mask:0xf// 000000007180: 0A2424FA FF015E8E
	v_mul_f32_dpp v19, v142, v19 row_newbcast:15 row_mask:0xf bank_mask:0xf// 000000007188: 0A2626FA FF015F8E
	v_mul_f32_dpp v20, v142, v20 row_newbcast:0 row_mask:0xf bank_mask:0xf// 000000007190: 0A2828FA FF01508E
	v_mul_f32_dpp v21, v142, v21 row_newbcast:1 row_mask:0xf bank_mask:0xf// 000000007198: 0A2A2AFA FF01518E
	v_mul_f32_dpp v22, v142, v22 row_newbcast:2 row_mask:0xf bank_mask:0xf// 0000000071A0: 0A2C2CFA FF01528E
	v_mul_f32_dpp v23, v142, v23 row_newbcast:3 row_mask:0xf bank_mask:0xf// 0000000071A8: 0A2E2EFA FF01538E
	v_mul_f32_dpp v24, v142, v24 row_newbcast:4 row_mask:0xf bank_mask:0xf// 0000000071B0: 0A3030FA FF01548E
	v_mul_f32_dpp v25, v142, v25 row_newbcast:5 row_mask:0xf bank_mask:0xf// 0000000071B8: 0A3232FA FF01558E
	v_mul_f32_dpp v26, v142, v26 row_newbcast:6 row_mask:0xf bank_mask:0xf// 0000000071C0: 0A3434FA FF01568E
	v_mul_f32_dpp v27, v142, v27 row_newbcast:7 row_mask:0xf bank_mask:0xf// 0000000071C8: 0A3636FA FF01578E
	v_mul_f32_dpp v28, v142, v28 row_newbcast:8 row_mask:0xf bank_mask:0xf// 0000000071D0: 0A3838FA FF01588E
	v_mul_f32_dpp v29, v142, v29 row_newbcast:9 row_mask:0xf bank_mask:0xf// 0000000071D8: 0A3A3AFA FF01598E
	v_mul_f32_dpp v30, v142, v30 row_newbcast:10 row_mask:0xf bank_mask:0xf// 0000000071E0: 0A3C3CFA FF015A8E
	v_mul_f32_dpp v31, v142, v31 row_newbcast:11 row_mask:0xf bank_mask:0xf// 0000000071E8: 0A3E3EFA FF015B8E
	v_mul_f32_dpp v32, v142, v32 row_newbcast:12 row_mask:0xf bank_mask:0xf// 0000000071F0: 0A4040FA FF015C8E
	v_mul_f32_dpp v33, v142, v33 row_newbcast:13 row_mask:0xf bank_mask:0xf// 0000000071F8: 0A4242FA FF015D8E
	v_mul_f32_dpp v34, v142, v34 row_newbcast:14 row_mask:0xf bank_mask:0xf// 000000007200: 0A4444FA FF015E8E
	v_mul_f32_dpp v35, v142, v35 row_newbcast:15 row_mask:0xf bank_mask:0xf// 000000007208: 0A4646FA FF015F8E
	v_mul_f32_dpp v36, v142, v36 row_newbcast:0 row_mask:0xf bank_mask:0xf// 000000007210: 0A4848FA FF01508E
	v_mul_f32_dpp v37, v142, v37 row_newbcast:1 row_mask:0xf bank_mask:0xf// 000000007218: 0A4A4AFA FF01518E
	v_mul_f32_dpp v38, v142, v38 row_newbcast:2 row_mask:0xf bank_mask:0xf// 000000007220: 0A4C4CFA FF01528E
	v_mul_f32_dpp v39, v142, v39 row_newbcast:3 row_mask:0xf bank_mask:0xf// 000000007228: 0A4E4EFA FF01538E
	v_mul_f32_dpp v40, v142, v40 row_newbcast:4 row_mask:0xf bank_mask:0xf// 000000007230: 0A5050FA FF01548E
	v_mul_f32_dpp v41, v142, v41 row_newbcast:5 row_mask:0xf bank_mask:0xf// 000000007238: 0A5252FA FF01558E
	v_mul_f32_dpp v42, v142, v42 row_newbcast:6 row_mask:0xf bank_mask:0xf// 000000007240: 0A5454FA FF01568E
	v_mul_f32_dpp v43, v142, v43 row_newbcast:7 row_mask:0xf bank_mask:0xf// 000000007248: 0A5656FA FF01578E
	v_mul_f32_dpp v44, v142, v44 row_newbcast:8 row_mask:0xf bank_mask:0xf// 000000007250: 0A5858FA FF01588E
	v_mul_f32_dpp v45, v142, v45 row_newbcast:9 row_mask:0xf bank_mask:0xf// 000000007258: 0A5A5AFA FF01598E
	v_mul_f32_dpp v46, v142, v46 row_newbcast:10 row_mask:0xf bank_mask:0xf// 000000007260: 0A5C5CFA FF015A8E
	v_mul_f32_dpp v47, v142, v47 row_newbcast:11 row_mask:0xf bank_mask:0xf// 000000007268: 0A5E5EFA FF015B8E
	v_mul_f32_dpp v48, v142, v48 row_newbcast:12 row_mask:0xf bank_mask:0xf// 000000007270: 0A6060FA FF015C8E
	v_mul_f32_dpp v49, v142, v49 row_newbcast:13 row_mask:0xf bank_mask:0xf// 000000007278: 0A6262FA FF015D8E
	v_mul_f32_dpp v50, v142, v50 row_newbcast:14 row_mask:0xf bank_mask:0xf// 000000007280: 0A6464FA FF015E8E
	v_mul_f32_dpp v51, v142, v51 row_newbcast:15 row_mask:0xf bank_mask:0xf// 000000007288: 0A6666FA FF015F8E
	v_mul_f32_dpp v52, v142, v52 row_newbcast:0 row_mask:0xf bank_mask:0xf// 000000007290: 0A6868FA FF01508E
	v_mul_f32_dpp v53, v142, v53 row_newbcast:1 row_mask:0xf bank_mask:0xf// 000000007298: 0A6A6AFA FF01518E
	v_mul_f32_dpp v54, v142, v54 row_newbcast:2 row_mask:0xf bank_mask:0xf// 0000000072A0: 0A6C6CFA FF01528E
	v_mul_f32_dpp v55, v142, v55 row_newbcast:3 row_mask:0xf bank_mask:0xf// 0000000072A8: 0A6E6EFA FF01538E
	v_mul_f32_dpp v56, v142, v56 row_newbcast:4 row_mask:0xf bank_mask:0xf// 0000000072B0: 0A7070FA FF01548E
	v_mul_f32_dpp v57, v142, v57 row_newbcast:5 row_mask:0xf bank_mask:0xf// 0000000072B8: 0A7272FA FF01558E
	v_mul_f32_dpp v58, v142, v58 row_newbcast:6 row_mask:0xf bank_mask:0xf// 0000000072C0: 0A7474FA FF01568E
	v_mul_f32_dpp v59, v142, v59 row_newbcast:7 row_mask:0xf bank_mask:0xf// 0000000072C8: 0A7676FA FF01578E
	v_mul_f32_dpp v60, v142, v60 row_newbcast:8 row_mask:0xf bank_mask:0xf// 0000000072D0: 0A7878FA FF01588E
	v_mul_f32_dpp v61, v142, v61 row_newbcast:9 row_mask:0xf bank_mask:0xf// 0000000072D8: 0A7A7AFA FF01598E
	v_mul_f32_dpp v62, v142, v62 row_newbcast:10 row_mask:0xf bank_mask:0xf// 0000000072E0: 0A7C7CFA FF015A8E
	v_mul_f32_dpp v63, v142, v63 row_newbcast:11 row_mask:0xf bank_mask:0xf// 0000000072E8: 0A7E7EFA FF015B8E
	v_mul_f32_dpp v64, v142, v64 row_newbcast:12 row_mask:0xf bank_mask:0xf// 0000000072F0: 0A8080FA FF015C8E
	v_mul_f32_dpp v65, v142, v65 row_newbcast:13 row_mask:0xf bank_mask:0xf// 0000000072F8: 0A8282FA FF015D8E
	v_mul_f32_dpp v66, v142, v66 row_newbcast:14 row_mask:0xf bank_mask:0xf// 000000007300: 0A8484FA FF015E8E
	v_mul_f32_dpp v67, v142, v67 row_newbcast:15 row_mask:0xf bank_mask:0xf// 000000007308: 0A8686FA FF015F8E
	buffer_load_dword v141, v231, s[20:23], 0 offen            // 000000007310: E0501000 80058DE7
	s_waitcnt lgkmcnt(0)                                       // 000000007318: BF8CC07F
	s_barrier                                                  // 00000000731C: BF8A0000
	buffer_load_dword v143, v232, s[24:27], 0 offen            // 000000007320: E0501000 80068FE8
	s_waitcnt lgkmcnt(0)                                       // 000000007328: BF8CC07F
	v_sub_f32_e32 v176, v176, v152                             // 00000000732C: 056131B0
	v_sub_f32_e32 v177, v177, v153                             // 000000007330: 056333B1
	v_sub_f32_e32 v178, v178, v154                             // 000000007334: 056535B2
	v_sub_f32_e32 v179, v179, v155                             // 000000007338: 056737B3
	v_mul_f32_e32 v176, s46, v176                              // 00000000733C: 0B61602E
	v_mul_f32_e32 v177, s46, v177                              // 000000007340: 0B63622E
	v_mul_f32_e32 v178, s46, v178                              // 000000007344: 0B65642E
	v_mul_f32_e32 v179, s46, v179                              // 000000007348: 0B67662E
	v_exp_f32_e32 v176, v176                                   // 00000000734C: 7F6041B0
	v_exp_f32_e32 v177, v177                                   // 000000007350: 7F6241B1
	v_exp_f32_e32 v178, v178                                   // 000000007354: 7F6441B2
	v_exp_f32_e32 v179, v179                                   // 000000007358: 7F6641B3
	v_mul_f32_e32 v176, v142, v176                             // 00000000735C: 0B61618E
	v_mul_f32_e32 v177, v142, v177                             // 000000007360: 0B63638E
	v_mul_f32_e32 v178, v142, v178                             // 000000007364: 0B65658E
	v_mul_f32_e32 v179, v142, v179                             // 000000007368: 0B67678E
	v_add_f32_e32 v176, 0x3089705f, v176                       // 00000000736C: 036160FF 3089705F
	v_add_f32_e32 v177, 0x3089705f, v177                       // 000000007374: 036362FF 3089705F
	v_add_f32_e32 v178, 0x3089705f, v178                       // 00000000737C: 036564FF 3089705F
	v_add_f32_e32 v179, 0x3089705f, v179                       // 000000007384: 036766FF 3089705F
	v_rcp_f32_e32 v176, v176                                   // 00000000738C: 7F6045B0
	v_rcp_f32_e32 v177, v177                                   // 000000007390: 7F6245B1
	v_rcp_f32_e32 v178, v178                                   // 000000007394: 7F6445B2
	v_rcp_f32_e32 v179, v179                                   // 000000007398: 7F6645B3
	v_mul_f32_e32 v176, 0x43700000, v176                       // 00000000739C: 0B6160FF 43700000
	v_mul_f32_e32 v177, 0x43700000, v177                       // 0000000073A4: 0B6362FF 43700000
	v_mul_f32_e32 v178, 0x43700000, v178                       // 0000000073AC: 0B6564FF 43700000
	v_mul_f32_e32 v179, 0x43700000, v179                       // 0000000073B4: 0B6766FF 43700000
	v_mul_f32_e32 v4, v176, v4                                 // 0000000073BC: 0A0809B0
	v_mul_f32_e32 v5, v176, v5                                 // 0000000073C0: 0A0A0BB0
	v_mul_f32_e32 v6, v176, v6                                 // 0000000073C4: 0A0C0DB0
	v_mul_f32_e32 v7, v176, v7                                 // 0000000073C8: 0A0E0FB0
	v_mul_f32_e32 v8, v176, v8                                 // 0000000073CC: 0A1011B0
	v_mul_f32_e32 v9, v176, v9                                 // 0000000073D0: 0A1213B0
	v_mul_f32_e32 v10, v176, v10                               // 0000000073D4: 0A1415B0
	v_mul_f32_e32 v11, v176, v11                               // 0000000073D8: 0A1617B0
	v_mul_f32_e32 v12, v176, v12                               // 0000000073DC: 0A1819B0
	v_mul_f32_e32 v13, v176, v13                               // 0000000073E0: 0A1A1BB0
	v_mul_f32_e32 v14, v176, v14                               // 0000000073E4: 0A1C1DB0
	v_mul_f32_e32 v15, v176, v15                               // 0000000073E8: 0A1E1FB0
	v_mul_f32_e32 v16, v176, v16                               // 0000000073EC: 0A2021B0
	v_mul_f32_e32 v17, v176, v17                               // 0000000073F0: 0A2223B0
	v_mul_f32_e32 v18, v176, v18                               // 0000000073F4: 0A2425B0
	v_mul_f32_e32 v19, v176, v19                               // 0000000073F8: 0A2627B0
	v_mul_f32_e32 v20, v177, v20                               // 0000000073FC: 0A2829B1
	v_mul_f32_e32 v21, v177, v21                               // 000000007400: 0A2A2BB1
	v_mul_f32_e32 v22, v177, v22                               // 000000007404: 0A2C2DB1
	v_mul_f32_e32 v23, v177, v23                               // 000000007408: 0A2E2FB1
	v_mul_f32_e32 v24, v177, v24                               // 00000000740C: 0A3031B1
	v_mul_f32_e32 v25, v177, v25                               // 000000007410: 0A3233B1
	v_mul_f32_e32 v26, v177, v26                               // 000000007414: 0A3435B1
	v_mul_f32_e32 v27, v177, v27                               // 000000007418: 0A3637B1
	v_mul_f32_e32 v28, v177, v28                               // 00000000741C: 0A3839B1
	v_mul_f32_e32 v29, v177, v29                               // 000000007420: 0A3A3BB1
	v_mul_f32_e32 v30, v177, v30                               // 000000007424: 0A3C3DB1
	v_mul_f32_e32 v31, v177, v31                               // 000000007428: 0A3E3FB1
	v_mul_f32_e32 v32, v177, v32                               // 00000000742C: 0A4041B1
	v_mul_f32_e32 v33, v177, v33                               // 000000007430: 0A4243B1
	v_mul_f32_e32 v34, v177, v34                               // 000000007434: 0A4445B1
	v_mul_f32_e32 v35, v177, v35                               // 000000007438: 0A4647B1
	v_mul_f32_e32 v36, v178, v36                               // 00000000743C: 0A4849B2
	v_mul_f32_e32 v37, v178, v37                               // 000000007440: 0A4A4BB2
	v_mul_f32_e32 v38, v178, v38                               // 000000007444: 0A4C4DB2
	v_mul_f32_e32 v39, v178, v39                               // 000000007448: 0A4E4FB2
	v_mul_f32_e32 v40, v178, v40                               // 00000000744C: 0A5051B2
	v_mul_f32_e32 v41, v178, v41                               // 000000007450: 0A5253B2
	v_mul_f32_e32 v42, v178, v42                               // 000000007454: 0A5455B2
	v_mul_f32_e32 v43, v178, v43                               // 000000007458: 0A5657B2
	v_mul_f32_e32 v44, v178, v44                               // 00000000745C: 0A5859B2
	v_mul_f32_e32 v45, v178, v45                               // 000000007460: 0A5A5BB2
	v_mul_f32_e32 v46, v178, v46                               // 000000007464: 0A5C5DB2
	v_mul_f32_e32 v47, v178, v47                               // 000000007468: 0A5E5FB2
	v_mul_f32_e32 v48, v178, v48                               // 00000000746C: 0A6061B2
	v_mul_f32_e32 v49, v178, v49                               // 000000007470: 0A6263B2
	v_mul_f32_e32 v50, v178, v50                               // 000000007474: 0A6465B2
	v_mul_f32_e32 v51, v178, v51                               // 000000007478: 0A6667B2
	v_mul_f32_e32 v52, v179, v52                               // 00000000747C: 0A6869B3
	v_mul_f32_e32 v53, v179, v53                               // 000000007480: 0A6A6BB3
	v_mul_f32_e32 v54, v179, v54                               // 000000007484: 0A6C6DB3
	v_mul_f32_e32 v55, v179, v55                               // 000000007488: 0A6E6FB3
	v_mul_f32_e32 v56, v179, v56                               // 00000000748C: 0A7071B3
	v_mul_f32_e32 v57, v179, v57                               // 000000007490: 0A7273B3
	v_mul_f32_e32 v58, v179, v58                               // 000000007494: 0A7475B3
	v_mul_f32_e32 v59, v179, v59                               // 000000007498: 0A7677B3
	v_mul_f32_e32 v60, v179, v60                               // 00000000749C: 0A7879B3
	v_mul_f32_e32 v61, v179, v61                               // 0000000074A0: 0A7A7BB3
	v_mul_f32_e32 v62, v179, v62                               // 0000000074A4: 0A7C7DB3
	v_mul_f32_e32 v63, v179, v63                               // 0000000074A8: 0A7E7FB3
	v_mul_f32_e32 v64, v179, v64                               // 0000000074AC: 0A8081B3
	v_mul_f32_e32 v65, v179, v65                               // 0000000074B0: 0A8283B3
	v_mul_f32_e32 v66, v179, v66                               // 0000000074B4: 0A8485B3
	v_mul_f32_e32 v67, v179, v67                               // 0000000074B8: 0A8687B3
	v_cvt_pk_fp8_f32 v4, v4, v5                                // 0000000074BC: D2A20004 00020B04
	v_cvt_pk_fp8_f32 v4, v6, v7 op_sel:[0,0,1]                 // 0000000074C4: D2A24004 00020F06
	v_cvt_pk_fp8_f32 v5, v8, v9                                // 0000000074CC: D2A20005 00021308
	v_cvt_pk_fp8_f32 v5, v10, v11 op_sel:[0,0,1]               // 0000000074D4: D2A24005 0002170A
	v_cvt_pk_fp8_f32 v6, v12, v13                              // 0000000074DC: D2A20006 00021B0C
	v_cvt_pk_fp8_f32 v6, v14, v15 op_sel:[0,0,1]               // 0000000074E4: D2A24006 00021F0E
	v_cvt_pk_fp8_f32 v7, v16, v17                              // 0000000074EC: D2A20007 00022310
	v_cvt_pk_fp8_f32 v7, v18, v19 op_sel:[0,0,1]               // 0000000074F4: D2A24007 00022712
	v_cvt_pk_fp8_f32 v8, v20, v21                              // 0000000074FC: D2A20008 00022B14
	v_cvt_pk_fp8_f32 v8, v22, v23 op_sel:[0,0,1]               // 000000007504: D2A24008 00022F16
	v_cvt_pk_fp8_f32 v9, v24, v25                              // 00000000750C: D2A20009 00023318
	v_cvt_pk_fp8_f32 v9, v26, v27 op_sel:[0,0,1]               // 000000007514: D2A24009 0002371A
	v_cvt_pk_fp8_f32 v10, v28, v29                             // 00000000751C: D2A2000A 00023B1C
	v_cvt_pk_fp8_f32 v10, v30, v31 op_sel:[0,0,1]              // 000000007524: D2A2400A 00023F1E
	v_cvt_pk_fp8_f32 v11, v32, v33                             // 00000000752C: D2A2000B 00024320
	v_cvt_pk_fp8_f32 v11, v34, v35 op_sel:[0,0,1]              // 000000007534: D2A2400B 00024722
	v_cvt_pk_fp8_f32 v12, v36, v37                             // 00000000753C: D2A2000C 00024B24
	v_cvt_pk_fp8_f32 v12, v38, v39 op_sel:[0,0,1]              // 000000007544: D2A2400C 00024F26
	v_cvt_pk_fp8_f32 v13, v40, v41                             // 00000000754C: D2A2000D 00025328
	v_cvt_pk_fp8_f32 v13, v42, v43 op_sel:[0,0,1]              // 000000007554: D2A2400D 0002572A
	v_cvt_pk_fp8_f32 v14, v44, v45                             // 00000000755C: D2A2000E 00025B2C
	v_cvt_pk_fp8_f32 v14, v46, v47 op_sel:[0,0,1]              // 000000007564: D2A2400E 00025F2E
	v_cvt_pk_fp8_f32 v15, v48, v49                             // 00000000756C: D2A2000F 00026330
	v_cvt_pk_fp8_f32 v15, v50, v51 op_sel:[0,0,1]              // 000000007574: D2A2400F 00026732
	v_cvt_pk_fp8_f32 v16, v52, v53                             // 00000000757C: D2A20010 00026B34
	v_cvt_pk_fp8_f32 v16, v54, v55 op_sel:[0,0,1]              // 000000007584: D2A24010 00026F36
	v_cvt_pk_fp8_f32 v17, v56, v57                             // 00000000758C: D2A20011 00027338
	v_cvt_pk_fp8_f32 v17, v58, v59 op_sel:[0,0,1]              // 000000007594: D2A24011 0002773A
	v_cvt_pk_fp8_f32 v18, v60, v61                             // 00000000759C: D2A20012 00027B3C
	v_cvt_pk_fp8_f32 v18, v62, v63 op_sel:[0,0,1]              // 0000000075A4: D2A24012 00027F3E
	v_cvt_pk_fp8_f32 v19, v64, v65                             // 0000000075AC: D2A20013 00028340
	v_cvt_pk_fp8_f32 v19, v66, v67 op_sel:[0,0,1]              // 0000000075B4: D2A24013 00028742
	ds_write_b32 v249, v4 offset:8192                          // 0000000075BC: D81A2000 000004F9
	ds_write_b32 v249, v5 offset:9216                          // 0000000075C4: D81A2400 000005F9
	ds_write_b32 v249, v6 offset:10240                         // 0000000075CC: D81A2800 000006F9
	ds_write_b32 v249, v7 offset:11264                         // 0000000075D4: D81A2C00 000007F9
	ds_write_b32 v249, v8 offset:12288                         // 0000000075DC: D81A3000 000008F9
	ds_write_b32 v249, v9 offset:13312                         // 0000000075E4: D81A3400 000009F9
	ds_write_b32 v249, v10 offset:14336                        // 0000000075EC: D81A3800 00000AF9
	ds_write_b32 v249, v11 offset:15360                        // 0000000075F4: D81A3C00 00000BF9
	ds_write_b32 v249, v12 offset:16384                        // 0000000075FC: D81A4000 00000CF9
	ds_write_b32 v249, v13 offset:17408                        // 000000007604: D81A4400 00000DF9
	ds_write_b32 v249, v14 offset:18432                        // 00000000760C: D81A4800 00000EF9
	ds_write_b32 v249, v15 offset:19456                        // 000000007614: D81A4C00 00000FF9
	ds_write_b32 v249, v16 offset:20480                        // 00000000761C: D81A5000 000010F9
	ds_write_b32 v249, v17 offset:21504                        // 000000007624: D81A5400 000011F9
	ds_write_b32 v249, v18 offset:22528                        // 00000000762C: D81A5800 000012F9
	ds_write_b32 v249, v19 offset:23552                        // 000000007634: D81A5C00 000013F9
	v_rcp_f32_e32 v144, v176                                   // 00000000763C: 7F2045B0
	v_rcp_f32_e32 v146, v177                                   // 000000007640: 7F2445B1
	v_rcp_f32_e32 v148, v178                                   // 000000007644: 7F2845B2
	v_rcp_f32_e32 v150, v179                                   // 000000007648: 7F2C45B3
	v_mov_b32_e32 v145, v144                                   // 00000000764C: 7F220390
	v_mov_b32_e32 v147, v146                                   // 000000007650: 7F260392
	v_mov_b32_e32 v149, v148                                   // 000000007654: 7F2A0394
	v_mov_b32_e32 v151, v150                                   // 000000007658: 7F2E0396
	v_pk_add_f32 v[100:101], v[100:101], v[68:69]              // 00000000765C: D3B24064 18028964
	v_pk_add_f32 v[102:103], v[102:103], v[70:71]              // 000000007664: D3B24066 18028D66
	v_pk_add_f32 v[104:105], v[104:105], v[72:73]              // 00000000766C: D3B24068 18029168
	v_pk_add_f32 v[106:107], v[106:107], v[74:75]              // 000000007674: D3B2406A 1802956A
	v_pk_add_f32 v[108:109], v[108:109], v[76:77]              // 00000000767C: D3B2406C 1802996C
	v_pk_add_f32 v[110:111], v[110:111], v[78:79]              // 000000007684: D3B2406E 18029D6E
	v_pk_add_f32 v[112:113], v[112:113], v[80:81]              // 00000000768C: D3B24070 1802A170
	v_pk_add_f32 v[114:115], v[114:115], v[82:83]              // 000000007694: D3B24072 1802A572
	v_pk_add_f32 v[116:117], v[116:117], v[84:85]              // 00000000769C: D3B24074 1802A974
	v_pk_add_f32 v[118:119], v[118:119], v[86:87]              // 0000000076A4: D3B24076 1802AD76
	v_pk_add_f32 v[120:121], v[120:121], v[88:89]              // 0000000076AC: D3B24078 1802B178
	v_pk_add_f32 v[122:123], v[122:123], v[90:91]              // 0000000076B4: D3B2407A 1802B57A
	v_pk_add_f32 v[124:125], v[124:125], v[92:93]              // 0000000076BC: D3B2407C 1802B97C
	v_pk_add_f32 v[126:127], v[126:127], v[94:95]              // 0000000076C4: D3B2407E 1802BD7E
	v_pk_add_f32 v[128:129], v[128:129], v[96:97]              // 0000000076CC: D3B24080 1802C180
	v_pk_add_f32 v[130:131], v[130:131], v[98:99]              // 0000000076D4: D3B24082 1802C582
	s_waitcnt lgkmcnt(0)                                       // 0000000076DC: BF8CC07F
	s_barrier                                                  // 0000000076E0: BF8A0000
	ds_read_b128 v[4:7], v250 offset:8192                      // 0000000076E4: D9FE2000 040000FA
	ds_read_b128 v[8:11], v250 offset:9216                     // 0000000076EC: D9FE2400 080000FA
	ds_read_b128 v[12:15], v250 offset:10240                   // 0000000076F4: D9FE2800 0C0000FA
	ds_read_b128 v[16:19], v250 offset:11264                   // 0000000076FC: D9FE2C00 100000FA
	ds_read_b128 v[20:23], v250 offset:12288                   // 000000007704: D9FE3000 140000FA
	ds_read_b128 v[24:27], v250 offset:13312                   // 00000000770C: D9FE3400 180000FA
	ds_read_b128 v[28:31], v250 offset:14336                   // 000000007714: D9FE3800 1C0000FA
	ds_read_b128 v[32:35], v250 offset:15360                   // 00000000771C: D9FE3C00 200000FA
	ds_read_b128 v[36:39], v250 offset:16384                   // 000000007724: D9FE4000 240000FA
	ds_read_b128 v[40:43], v250 offset:17408                   // 00000000772C: D9FE4400 280000FA
	ds_read_b128 v[44:47], v250 offset:18432                   // 000000007734: D9FE4800 2C0000FA
	ds_read_b128 v[48:51], v250 offset:19456                   // 00000000773C: D9FE4C00 300000FA
	ds_read_b128 v[52:55], v250 offset:20480                   // 000000007744: D9FE5000 340000FA
	ds_read_b128 v[56:59], v250 offset:21504                   // 00000000774C: D9FE5400 380000FA
	ds_read_b128 v[60:63], v250 offset:22528                   // 000000007754: D9FE5800 3C0000FA
	ds_read_b128 v[64:67], v250 offset:23552                   // 00000000775C: D9FE5C00 400000FA
	s_waitcnt vmcnt(10)                                        // 000000007764: BF8C0F7A
	s_waitcnt vmcnt(63) expcnt(7) lgkmcnt(15)                  // 000000007768: BF8CCF7F
	v_mfma_f32_16x16x32_fp8_fp8 v[68:71], a[96:97], v[4:5], 0  // 00000000776C: D3F30044 0A020960
	v_mfma_f32_16x16x32_fp8_fp8 v[72:75], a[112:113], v[4:5], 0// 000000007774: D3F30048 0A020970
	v_mfma_f32_16x16x32_fp8_fp8 v[68:71], a[98:99], v[6:7], v[68:71]// 00000000777C: D3F30044 0D120D62
	buffer_load_dwordx4 a[128:131], v227, s[16:19], 0 offen    // 000000007784: E05C1000 808480E3
	v_mfma_f32_16x16x32_fp8_fp8 v[72:75], a[114:115], v[6:7], v[72:75]// 00000000778C: D3F30048 0D220D72
	s_waitcnt lgkmcnt(14)                                      // 000000007794: BF8CCE7F
	v_mfma_f32_16x16x32_fp8_fp8 v[68:71], a[100:101], v[8:9], v[68:71]// 000000007798: D3F30044 0D121164
	v_mfma_f32_16x16x32_fp8_fp8 v[72:75], a[116:117], v[8:9], v[72:75]// 0000000077A0: D3F30048 0D221174
	v_mfma_f32_16x16x32_fp8_fp8 v[68:71], a[102:103], v[10:11], v[68:71]// 0000000077A8: D3F30044 0D121566
	buffer_load_dwordx4 a[132:135], v228, s[16:19], 0 offen    // 0000000077B0: E05C1000 808484E4
	v_mfma_f32_16x16x32_fp8_fp8 v[72:75], a[118:119], v[10:11], v[72:75]// 0000000077B8: D3F30048 0D221576
	s_waitcnt lgkmcnt(13)                                      // 0000000077C0: BF8CCD7F
	v_mfma_f32_16x16x32_fp8_fp8 v[68:71], a[104:105], v[12:13], v[68:71]// 0000000077C4: D3F30044 0D121968
	v_mfma_f32_16x16x32_fp8_fp8 v[72:75], a[120:121], v[12:13], v[72:75]// 0000000077CC: D3F30048 0D221978
	v_mfma_f32_16x16x32_fp8_fp8 v[68:71], a[106:107], v[14:15], v[68:71]// 0000000077D4: D3F30044 0D121D6A
	buffer_load_dwordx4 a[136:139], v229, s[16:19], 0 offen    // 0000000077DC: E05C1000 808488E5
	v_mfma_f32_16x16x32_fp8_fp8 v[72:75], a[122:123], v[14:15], v[72:75]// 0000000077E4: D3F30048 0D221D7A
	s_waitcnt lgkmcnt(12)                                      // 0000000077EC: BF8CCC7F
	v_mfma_f32_16x16x32_fp8_fp8 v[68:71], a[108:109], v[16:17], v[68:71]// 0000000077F0: D3F30044 0D12216C
	v_mfma_f32_16x16x32_fp8_fp8 v[72:75], a[124:125], v[16:17], v[72:75]// 0000000077F8: D3F30048 0D22217C
	v_mfma_f32_16x16x32_fp8_fp8 v[68:71], a[110:111], v[18:19], v[68:71]// 000000007800: D3F30044 0D12256E
	buffer_load_dwordx4 a[140:143], v230, s[16:19], 0 offen    // 000000007808: E05C1000 80848CE6
	v_mfma_f32_16x16x32_fp8_fp8 v[72:75], a[126:127], v[18:19], v[72:75]// 000000007810: D3F30048 0D22257E
	s_waitcnt lgkmcnt(11)                                      // 000000007818: BF8CCB7F
	v_mfma_f32_16x16x32_fp8_fp8 v[76:79], a[96:97], v[20:21], 0// 00000000781C: D3F3004C 0A022960
	v_mfma_f32_16x16x32_fp8_fp8 v[80:83], a[112:113], v[20:21], 0// 000000007824: D3F30050 0A022970
	v_mfma_f32_16x16x32_fp8_fp8 v[76:79], a[98:99], v[22:23], v[76:79]// 00000000782C: D3F3004C 0D322D62
	buffer_load_dwordx4 a[144:147], v227, s[16:19], 0 offen offset:1024// 000000007834: E05C1400 808490E3
	v_mfma_f32_16x16x32_fp8_fp8 v[80:83], a[114:115], v[22:23], v[80:83]// 00000000783C: D3F30050 0D422D72
	s_waitcnt lgkmcnt(10)                                      // 000000007844: BF8CCA7F
	v_mfma_f32_16x16x32_fp8_fp8 v[76:79], a[100:101], v[24:25], v[76:79]// 000000007848: D3F3004C 0D323164
	v_mfma_f32_16x16x32_fp8_fp8 v[80:83], a[116:117], v[24:25], v[80:83]// 000000007850: D3F30050 0D423174
	v_mfma_f32_16x16x32_fp8_fp8 v[76:79], a[102:103], v[26:27], v[76:79]// 000000007858: D3F3004C 0D323566
	buffer_load_dwordx4 a[148:151], v228, s[16:19], 0 offen offset:1024// 000000007860: E05C1400 808494E4
	v_mfma_f32_16x16x32_fp8_fp8 v[80:83], a[118:119], v[26:27], v[80:83]// 000000007868: D3F30050 0D423576
	s_waitcnt lgkmcnt(9)                                       // 000000007870: BF8CC97F
	v_mfma_f32_16x16x32_fp8_fp8 v[76:79], a[104:105], v[28:29], v[76:79]// 000000007874: D3F3004C 0D323968
	v_mfma_f32_16x16x32_fp8_fp8 v[80:83], a[120:121], v[28:29], v[80:83]// 00000000787C: D3F30050 0D423978
	v_mfma_f32_16x16x32_fp8_fp8 v[76:79], a[106:107], v[30:31], v[76:79]// 000000007884: D3F3004C 0D323D6A
	buffer_load_dwordx4 a[152:155], v229, s[16:19], 0 offen offset:1024// 00000000788C: E05C1400 808498E5
	v_mfma_f32_16x16x32_fp8_fp8 v[80:83], a[122:123], v[30:31], v[80:83]// 000000007894: D3F30050 0D423D7A
	s_waitcnt lgkmcnt(8)                                       // 00000000789C: BF8CC87F
	v_mfma_f32_16x16x32_fp8_fp8 v[76:79], a[108:109], v[32:33], v[76:79]// 0000000078A0: D3F3004C 0D32416C
	v_mfma_f32_16x16x32_fp8_fp8 v[80:83], a[124:125], v[32:33], v[80:83]// 0000000078A8: D3F30050 0D42417C
	v_mfma_f32_16x16x32_fp8_fp8 v[76:79], a[110:111], v[34:35], v[76:79]// 0000000078B0: D3F3004C 0D32456E
	buffer_load_dwordx4 a[156:159], v230, s[16:19], 0 offen offset:1024// 0000000078B8: E05C1400 80849CE6
	v_mfma_f32_16x16x32_fp8_fp8 v[80:83], a[126:127], v[34:35], v[80:83]// 0000000078C0: D3F30050 0D42457E
	s_waitcnt lgkmcnt(7)                                       // 0000000078C8: BF8CC77F
	v_mfma_f32_16x16x32_fp8_fp8 v[84:87], a[96:97], v[36:37], 0// 0000000078CC: D3F30054 0A024960
	v_mfma_f32_16x16x32_fp8_fp8 v[88:91], a[112:113], v[36:37], 0// 0000000078D4: D3F30058 0A024970
	v_mfma_f32_16x16x32_fp8_fp8 v[84:87], a[98:99], v[38:39], v[84:87]// 0000000078DC: D3F30054 0D524D62
	v_mfma_f32_16x16x32_fp8_fp8 v[88:91], a[114:115], v[38:39], v[88:91]// 0000000078E4: D3F30058 0D624D72
	s_waitcnt lgkmcnt(6)                                       // 0000000078EC: BF8CC67F
	v_mfma_f32_16x16x32_fp8_fp8 v[84:87], a[100:101], v[40:41], v[84:87]// 0000000078F0: D3F30054 0D525164
	v_mfma_f32_16x16x32_fp8_fp8 v[88:91], a[116:117], v[40:41], v[88:91]// 0000000078F8: D3F30058 0D625174
	v_mfma_f32_16x16x32_fp8_fp8 v[84:87], a[102:103], v[42:43], v[84:87]// 000000007900: D3F30054 0D525566
	v_mfma_f32_16x16x32_fp8_fp8 v[88:91], a[118:119], v[42:43], v[88:91]// 000000007908: D3F30058 0D625576
	s_waitcnt lgkmcnt(5)                                       // 000000007910: BF8CC57F
	v_mfma_f32_16x16x32_fp8_fp8 v[84:87], a[104:105], v[44:45], v[84:87]// 000000007914: D3F30054 0D525968
	v_mfma_f32_16x16x32_fp8_fp8 v[88:91], a[120:121], v[44:45], v[88:91]// 00000000791C: D3F30058 0D625978
	v_mfma_f32_16x16x32_fp8_fp8 v[84:87], a[106:107], v[46:47], v[84:87]// 000000007924: D3F30054 0D525D6A
	v_mfma_f32_16x16x32_fp8_fp8 v[88:91], a[122:123], v[46:47], v[88:91]// 00000000792C: D3F30058 0D625D7A
	s_waitcnt lgkmcnt(4)                                       // 000000007934: BF8CC47F
	v_mfma_f32_16x16x32_fp8_fp8 v[84:87], a[108:109], v[48:49], v[84:87]// 000000007938: D3F30054 0D52616C
	v_mfma_f32_16x16x32_fp8_fp8 v[88:91], a[124:125], v[48:49], v[88:91]// 000000007940: D3F30058 0D62617C
	v_mfma_f32_16x16x32_fp8_fp8 v[84:87], a[110:111], v[50:51], v[84:87]// 000000007948: D3F30054 0D52656E
	v_mfma_f32_16x16x32_fp8_fp8 v[88:91], a[126:127], v[50:51], v[88:91]// 000000007950: D3F30058 0D62657E
	s_waitcnt lgkmcnt(3)                                       // 000000007958: BF8CC37F
	v_mfma_f32_16x16x32_fp8_fp8 v[92:95], a[96:97], v[52:53], 0// 00000000795C: D3F3005C 0A026960
	v_mfma_f32_16x16x32_fp8_fp8 v[96:99], a[112:113], v[52:53], 0// 000000007964: D3F30060 0A026970
	v_mfma_f32_16x16x32_fp8_fp8 v[92:95], a[98:99], v[54:55], v[92:95]// 00000000796C: D3F3005C 0D726D62
	v_mfma_f32_16x16x32_fp8_fp8 v[96:99], a[114:115], v[54:55], v[96:99]// 000000007974: D3F30060 0D826D72
	s_waitcnt lgkmcnt(2)                                       // 00000000797C: BF8CC27F
	v_mfma_f32_16x16x32_fp8_fp8 v[92:95], a[100:101], v[56:57], v[92:95]// 000000007980: D3F3005C 0D727164
	v_mfma_f32_16x16x32_fp8_fp8 v[96:99], a[116:117], v[56:57], v[96:99]// 000000007988: D3F30060 0D827174
	v_mfma_f32_16x16x32_fp8_fp8 v[92:95], a[102:103], v[58:59], v[92:95]// 000000007990: D3F3005C 0D727566
	v_mfma_f32_16x16x32_fp8_fp8 v[96:99], a[118:119], v[58:59], v[96:99]// 000000007998: D3F30060 0D827576
	s_waitcnt lgkmcnt(1)                                       // 0000000079A0: BF8CC17F
	v_mfma_f32_16x16x32_fp8_fp8 v[92:95], a[104:105], v[60:61], v[92:95]// 0000000079A4: D3F3005C 0D727968
	v_mfma_f32_16x16x32_fp8_fp8 v[96:99], a[120:121], v[60:61], v[96:99]// 0000000079AC: D3F30060 0D827978
	v_mfma_f32_16x16x32_fp8_fp8 v[92:95], a[106:107], v[62:63], v[92:95]// 0000000079B4: D3F3005C 0D727D6A
	v_mfma_f32_16x16x32_fp8_fp8 v[96:99], a[122:123], v[62:63], v[96:99]// 0000000079BC: D3F30060 0D827D7A
	s_waitcnt lgkmcnt(0)                                       // 0000000079C4: BF8CC07F
	v_mfma_f32_16x16x32_fp8_fp8 v[92:95], a[108:109], v[64:65], v[92:95]// 0000000079C8: D3F3005C 0D72816C
	v_mfma_f32_16x16x32_fp8_fp8 v[96:99], a[124:125], v[64:65], v[96:99]// 0000000079D0: D3F30060 0D82817C
	v_mfma_f32_16x16x32_fp8_fp8 v[92:95], a[110:111], v[66:67], v[92:95]// 0000000079D8: D3F3005C 0D72856E
	v_mfma_f32_16x16x32_fp8_fp8 v[96:99], a[126:127], v[66:67], v[96:99]// 0000000079E0: D3F30060 0D82857E
	s_addk_i32 s64, 0x100                                      // 0000000079E8: B7400100
	s_cmp_lt_i32 s64, s63                                      // 0000000079EC: BF043F40
	s_cbranch_scc0 label_4B0D                                  // 0000000079F0: BF843610
	s_waitcnt vmcnt(10)                                        // 0000000079F4: BF8C0F7A
	v_mfma_f32_16x16x32_fp8_fp8 v[4:7], a[64:65], a[0:1], 0    // 0000000079F8: D3F30004 1A020140
	s_add_u32 s12, s86, s69                                    // 000000007A00: 800C4556
	s_addc_u32 s13, s87, 0                                     // 000000007A04: 820D8057
	v_mfma_f32_16x16x32_fp8_fp8 v[4:7], a[66:67], a[2:3], v[4:7]// 000000007A08: D3F30004 1C120542
	s_add_u32 s16, s88, s70                                    // 000000007A10: 80104658
	s_addc_u32 s17, s89, 0                                     // 000000007A14: 82118059
	v_mfma_f32_16x16x32_fp8_fp8 v[4:7], a[68:69], a[4:5], v[4:7]// 000000007A18: D3F30004 1C120944
	buffer_load_dwordx4 a[32:35], v225, s[12:15], 0 offen      // 000000007A20: E05C1000 808320E1
	v_mfma_f32_16x16x32_fp8_fp8 v[4:7], a[70:71], a[6:7], v[4:7]// 000000007A28: D3F30004 1C120D46
	s_add_u32 s20, s90, s71                                    // 000000007A30: 8014475A
	s_addc_u32 s21, s91, 0                                     // 000000007A34: 8215805B
	v_mfma_f32_16x16x32_fp8_fp8 v[8:11], a[72:73], a[0:1], 0   // 000000007A38: D3F30008 1A020148
	s_add_u32 s24, s92, s71                                    // 000000007A40: 8018475C
	s_addc_u32 s25, s93, 0                                     // 000000007A44: 8219805D
	v_mfma_f32_16x16x32_fp8_fp8 v[8:11], a[74:75], a[2:3], v[8:11]// 000000007A48: D3F30008 1C22054A
	s_add_u32 s69, s69, 0x1000                                 // 000000007A50: 8045FF45 00001000
	s_add_u32 s70, s70, 0x8000                                 // 000000007A58: 8046FF46 00008000
	v_mfma_f32_16x16x32_fp8_fp8 v[8:11], a[76:77], a[4:5], v[8:11]// 000000007A60: D3F30008 1C22094C
	buffer_load_dwordx4 a[36:39], v226, s[12:15], 0 offen      // 000000007A68: E05C1000 808324E2
	v_mfma_f32_16x16x32_fp8_fp8 v[8:11], a[78:79], a[6:7], v[8:11]// 000000007A70: D3F30008 1C220D4E
	v_mfma_f32_16x16x32_fp8_fp8 v[12:15], a[80:81], a[0:1], 0  // 000000007A78: D3F3000C 1A020150
	v_mfma_f32_16x16x32_fp8_fp8 v[12:15], a[82:83], a[2:3], v[12:15]// 000000007A80: D3F3000C 1C320552
	v_mfma_f32_16x16x32_fp8_fp8 v[12:15], a[84:85], a[4:5], v[12:15]// 000000007A88: D3F3000C 1C320954
	buffer_load_dwordx4 a[40:43], v225, s[12:15], 0 offen offset:1024// 000000007A90: E05C1400 808328E1
	v_mfma_f32_16x16x32_fp8_fp8 v[12:15], a[86:87], a[6:7], v[12:15]// 000000007A98: D3F3000C 1C320D56
	v_mfma_f32_16x16x32_fp8_fp8 v[16:19], a[88:89], a[0:1], 0  // 000000007AA0: D3F30010 1A020158
	v_mfma_f32_16x16x32_fp8_fp8 v[16:19], a[90:91], a[2:3], v[16:19]// 000000007AA8: D3F30010 1C42055A
	v_mfma_f32_16x16x32_fp8_fp8 v[16:19], a[92:93], a[4:5], v[16:19]// 000000007AB0: D3F30010 1C42095C
	buffer_load_dwordx4 a[44:47], v226, s[12:15], 0 offen offset:1024// 000000007AB8: E05C1400 80832CE2
	v_mfma_f32_16x16x32_fp8_fp8 v[16:19], a[94:95], a[6:7], v[16:19]// 000000007AC0: D3F30010 1C420D5E
	v_mfma_f32_16x16x32_fp8_fp8 v[20:23], a[64:65], a[8:9], 0  // 000000007AC8: D3F30014 1A021140
	v_mfma_f32_16x16x32_fp8_fp8 v[20:23], a[66:67], a[10:11], v[20:23]// 000000007AD0: D3F30014 1C521542
	v_mfma_f32_16x16x32_fp8_fp8 v[20:23], a[68:69], a[12:13], v[20:23]// 000000007AD8: D3F30014 1C521944
	buffer_load_dwordx4 a[48:51], v225, s[12:15], 0 offen offset:2048// 000000007AE0: E05C1800 808330E1
	v_mfma_f32_16x16x32_fp8_fp8 v[20:23], a[70:71], a[14:15], v[20:23]// 000000007AE8: D3F30014 1C521D46
	v_mfma_f32_16x16x32_fp8_fp8 v[24:27], a[72:73], a[8:9], 0  // 000000007AF0: D3F30018 1A021148
	v_mfma_f32_16x16x32_fp8_fp8 v[24:27], a[74:75], a[10:11], v[24:27]// 000000007AF8: D3F30018 1C62154A
	v_mfma_f32_16x16x32_fp8_fp8 v[24:27], a[76:77], a[12:13], v[24:27]// 000000007B00: D3F30018 1C62194C
	buffer_load_dwordx4 a[52:55], v226, s[12:15], 0 offen offset:2048// 000000007B08: E05C1800 808334E2
	v_mfma_f32_16x16x32_fp8_fp8 v[24:27], a[78:79], a[14:15], v[24:27]// 000000007B10: D3F30018 1C621D4E
	v_mfma_f32_16x16x32_fp8_fp8 v[28:31], a[80:81], a[8:9], 0  // 000000007B18: D3F3001C 1A021150
	v_mfma_f32_16x16x32_fp8_fp8 v[28:31], a[82:83], a[10:11], v[28:31]// 000000007B20: D3F3001C 1C721552
	v_mfma_f32_16x16x32_fp8_fp8 v[28:31], a[84:85], a[12:13], v[28:31]// 000000007B28: D3F3001C 1C721954
	buffer_load_dwordx4 a[56:59], v225, s[12:15], 0 offen offset:3072// 000000007B30: E05C1C00 808338E1
	v_mfma_f32_16x16x32_fp8_fp8 v[28:31], a[86:87], a[14:15], v[28:31]// 000000007B38: D3F3001C 1C721D56
	v_mfma_f32_16x16x32_fp8_fp8 v[32:35], a[88:89], a[8:9], 0  // 000000007B40: D3F30020 1A021158
	v_mfma_f32_16x16x32_fp8_fp8 v[32:35], a[90:91], a[10:11], v[32:35]// 000000007B48: D3F30020 1C82155A
	v_mfma_f32_16x16x32_fp8_fp8 v[32:35], a[92:93], a[12:13], v[32:35]// 000000007B50: D3F30020 1C82195C
	buffer_load_dwordx4 a[60:63], v226, s[12:15], 0 offen offset:3072// 000000007B58: E05C1C00 80833CE2
	v_mfma_f32_16x16x32_fp8_fp8 v[32:35], a[94:95], a[14:15], v[32:35]// 000000007B60: D3F30020 1C821D5E
	v_mfma_f32_16x16x32_fp8_fp8 v[36:39], a[64:65], a[16:17], 0// 000000007B68: D3F30024 1A022140
	v_mfma_f32_16x16x32_fp8_fp8 v[36:39], a[66:67], a[18:19], v[36:39]// 000000007B70: D3F30024 1C922542
	v_mfma_f32_16x16x32_fp8_fp8 v[36:39], a[68:69], a[20:21], v[36:39]// 000000007B78: D3F30024 1C922944
	v_mfma_f32_16x16x32_fp8_fp8 v[36:39], a[70:71], a[22:23], v[36:39]// 000000007B80: D3F30024 1C922D46
	v_mfma_f32_16x16x32_fp8_fp8 v[40:43], a[72:73], a[16:17], 0// 000000007B88: D3F30028 1A022148
	v_mfma_f32_16x16x32_fp8_fp8 v[40:43], a[74:75], a[18:19], v[40:43]// 000000007B90: D3F30028 1CA2254A
	v_mfma_f32_16x16x32_fp8_fp8 v[40:43], a[76:77], a[20:21], v[40:43]// 000000007B98: D3F30028 1CA2294C
	v_mfma_f32_16x16x32_fp8_fp8 v[40:43], a[78:79], a[22:23], v[40:43]// 000000007BA0: D3F30028 1CA22D4E
	v_mfma_f32_16x16x32_fp8_fp8 v[44:47], a[80:81], a[16:17], 0// 000000007BA8: D3F3002C 1A022150
	v_mfma_f32_16x16x32_fp8_fp8 v[44:47], a[82:83], a[18:19], v[44:47]// 000000007BB0: D3F3002C 1CB22552
	v_mfma_f32_16x16x32_fp8_fp8 v[44:47], a[84:85], a[20:21], v[44:47]// 000000007BB8: D3F3002C 1CB22954
	v_mfma_f32_16x16x32_fp8_fp8 v[44:47], a[86:87], a[22:23], v[44:47]// 000000007BC0: D3F3002C 1CB22D56
	v_mfma_f32_16x16x32_fp8_fp8 v[48:51], a[88:89], a[16:17], 0// 000000007BC8: D3F30030 1A022158
	v_mfma_f32_16x16x32_fp8_fp8 v[48:51], a[90:91], a[18:19], v[48:51]// 000000007BD0: D3F30030 1CC2255A
	v_mfma_f32_16x16x32_fp8_fp8 v[48:51], a[92:93], a[20:21], v[48:51]// 000000007BD8: D3F30030 1CC2295C
	v_mfma_f32_16x16x32_fp8_fp8 v[48:51], a[94:95], a[22:23], v[48:51]// 000000007BE0: D3F30030 1CC22D5E
	v_mfma_f32_16x16x32_fp8_fp8 v[52:55], a[64:65], a[24:25], 0// 000000007BE8: D3F30034 1A023140
	v_mfma_f32_16x16x32_fp8_fp8 v[52:55], a[66:67], a[26:27], v[52:55]// 000000007BF0: D3F30034 1CD23542
	v_mfma_f32_16x16x32_fp8_fp8 v[52:55], a[68:69], a[28:29], v[52:55]// 000000007BF8: D3F30034 1CD23944
	v_mfma_f32_16x16x32_fp8_fp8 v[52:55], a[70:71], a[30:31], v[52:55]// 000000007C00: D3F30034 1CD23D46
	v_mfma_f32_16x16x32_fp8_fp8 v[56:59], a[72:73], a[24:25], 0// 000000007C08: D3F30038 1A023148
	v_mfma_f32_16x16x32_fp8_fp8 v[56:59], a[74:75], a[26:27], v[56:59]// 000000007C10: D3F30038 1CE2354A
	v_mfma_f32_16x16x32_fp8_fp8 v[56:59], a[76:77], a[28:29], v[56:59]// 000000007C18: D3F30038 1CE2394C
	v_mfma_f32_16x16x32_fp8_fp8 v[56:59], a[78:79], a[30:31], v[56:59]// 000000007C20: D3F30038 1CE23D4E
	v_mfma_f32_16x16x32_fp8_fp8 v[60:63], a[80:81], a[24:25], 0// 000000007C28: D3F3003C 1A023150
	v_mfma_f32_16x16x32_fp8_fp8 v[60:63], a[82:83], a[26:27], v[60:63]// 000000007C30: D3F3003C 1CF23552
	v_mfma_f32_16x16x32_fp8_fp8 v[60:63], a[84:85], a[28:29], v[60:63]// 000000007C38: D3F3003C 1CF23954
	v_mfma_f32_16x16x32_fp8_fp8 v[60:63], a[86:87], a[30:31], v[60:63]// 000000007C40: D3F3003C 1CF23D56
	v_mfma_f32_16x16x32_fp8_fp8 v[64:67], a[88:89], a[24:25], 0// 000000007C48: D3F30040 1A023158
	v_mfma_f32_16x16x32_fp8_fp8 v[64:67], a[90:91], a[26:27], v[64:67]// 000000007C50: D3F30040 1D02355A
	v_mfma_f32_16x16x32_fp8_fp8 v[64:67], a[92:93], a[28:29], v[64:67]// 000000007C58: D3F30040 1D02395C
	v_mfma_f32_16x16x32_fp8_fp8 v[64:67], a[94:95], a[30:31], v[64:67]// 000000007C60: D3F30040 1D023D5E
	s_waitcnt vmcnt(16)                                        // 000000007C68: BF8C4F70
	v_pk_mul_f32 v[4:5], v[132:133], v[4:5]                    // 000000007C6C: D3B14004 18020984
	v_pk_mul_f32 v[6:7], v[132:133], v[6:7]                    // 000000007C74: D3B14006 18020D84
	v_mul_f32_dpp v4, v141, v4 row_newbcast:0 row_mask:0xf bank_mask:0xf// 000000007C7C: 0A0808FA FF01508D
	v_mul_f32_dpp v5, v141, v5 row_newbcast:1 row_mask:0xf bank_mask:0xf// 000000007C84: 0A0A0AFA FF01518D
	v_mul_f32_dpp v6, v141, v6 row_newbcast:2 row_mask:0xf bank_mask:0xf// 000000007C8C: 0A0C0CFA FF01528D
	v_mul_f32_dpp v7, v141, v7 row_newbcast:3 row_mask:0xf bank_mask:0xf// 000000007C94: 0A0E0EFA FF01538D
	v_pk_mul_f32 v[8:9], v[132:133], v[8:9]                    // 000000007C9C: D3B14008 18021184
	v_pk_mul_f32 v[10:11], v[132:133], v[10:11]                // 000000007CA4: D3B1400A 18021584
	v_mul_f32_dpp v8, v141, v8 row_newbcast:4 row_mask:0xf bank_mask:0xf// 000000007CAC: 0A1010FA FF01548D
	v_mul_f32_dpp v9, v141, v9 row_newbcast:5 row_mask:0xf bank_mask:0xf// 000000007CB4: 0A1212FA FF01558D
	v_mul_f32_dpp v10, v141, v10 row_newbcast:6 row_mask:0xf bank_mask:0xf// 000000007CBC: 0A1414FA FF01568D
	v_mul_f32_dpp v11, v141, v11 row_newbcast:7 row_mask:0xf bank_mask:0xf// 000000007CC4: 0A1616FA FF01578D
	v_pk_mul_f32 v[12:13], v[132:133], v[12:13]                // 000000007CCC: D3B1400C 18021984
	v_pk_mul_f32 v[14:15], v[132:133], v[14:15]                // 000000007CD4: D3B1400E 18021D84
	v_mul_f32_dpp v12, v141, v12 row_newbcast:8 row_mask:0xf bank_mask:0xf// 000000007CDC: 0A1818FA FF01588D
	v_mul_f32_dpp v13, v141, v13 row_newbcast:9 row_mask:0xf bank_mask:0xf// 000000007CE4: 0A1A1AFA FF01598D
	v_mul_f32_dpp v14, v141, v14 row_newbcast:10 row_mask:0xf bank_mask:0xf// 000000007CEC: 0A1C1CFA FF015A8D
	v_mul_f32_dpp v15, v141, v15 row_newbcast:11 row_mask:0xf bank_mask:0xf// 000000007CF4: 0A1E1EFA FF015B8D
	v_pk_mul_f32 v[16:17], v[132:133], v[16:17]                // 000000007CFC: D3B14010 18022184
	v_pk_mul_f32 v[18:19], v[132:133], v[18:19]                // 000000007D04: D3B14012 18022584
	v_mul_f32_dpp v16, v141, v16 row_newbcast:12 row_mask:0xf bank_mask:0xf// 000000007D0C: 0A2020FA FF015C8D
	v_mul_f32_dpp v17, v141, v17 row_newbcast:13 row_mask:0xf bank_mask:0xf// 000000007D14: 0A2222FA FF015D8D
	v_mul_f32_dpp v18, v141, v18 row_newbcast:14 row_mask:0xf bank_mask:0xf// 000000007D1C: 0A2424FA FF015E8D
	v_mul_f32_dpp v19, v141, v19 row_newbcast:15 row_mask:0xf bank_mask:0xf// 000000007D24: 0A2626FA FF015F8D
	v_pk_mul_f32 v[20:21], v[134:135], v[20:21]                // 000000007D2C: D3B14014 18022986
	v_pk_mul_f32 v[22:23], v[134:135], v[22:23]                // 000000007D34: D3B14016 18022D86
	v_mul_f32_dpp v20, v141, v20 row_newbcast:0 row_mask:0xf bank_mask:0xf// 000000007D3C: 0A2828FA FF01508D
	v_mul_f32_dpp v21, v141, v21 row_newbcast:1 row_mask:0xf bank_mask:0xf// 000000007D44: 0A2A2AFA FF01518D
	v_mul_f32_dpp v22, v141, v22 row_newbcast:2 row_mask:0xf bank_mask:0xf// 000000007D4C: 0A2C2CFA FF01528D
	v_mul_f32_dpp v23, v141, v23 row_newbcast:3 row_mask:0xf bank_mask:0xf// 000000007D54: 0A2E2EFA FF01538D
	v_pk_mul_f32 v[24:25], v[134:135], v[24:25]                // 000000007D5C: D3B14018 18023186
	v_pk_mul_f32 v[26:27], v[134:135], v[26:27]                // 000000007D64: D3B1401A 18023586
	v_mul_f32_dpp v24, v141, v24 row_newbcast:4 row_mask:0xf bank_mask:0xf// 000000007D6C: 0A3030FA FF01548D
	v_mul_f32_dpp v25, v141, v25 row_newbcast:5 row_mask:0xf bank_mask:0xf// 000000007D74: 0A3232FA FF01558D
	v_mul_f32_dpp v26, v141, v26 row_newbcast:6 row_mask:0xf bank_mask:0xf// 000000007D7C: 0A3434FA FF01568D
	v_mul_f32_dpp v27, v141, v27 row_newbcast:7 row_mask:0xf bank_mask:0xf// 000000007D84: 0A3636FA FF01578D
	v_pk_mul_f32 v[28:29], v[134:135], v[28:29]                // 000000007D8C: D3B1401C 18023986
	v_pk_mul_f32 v[30:31], v[134:135], v[30:31]                // 000000007D94: D3B1401E 18023D86
	v_mul_f32_dpp v28, v141, v28 row_newbcast:8 row_mask:0xf bank_mask:0xf// 000000007D9C: 0A3838FA FF01588D
	v_mul_f32_dpp v29, v141, v29 row_newbcast:9 row_mask:0xf bank_mask:0xf// 000000007DA4: 0A3A3AFA FF01598D
	v_mul_f32_dpp v30, v141, v30 row_newbcast:10 row_mask:0xf bank_mask:0xf// 000000007DAC: 0A3C3CFA FF015A8D
	v_mul_f32_dpp v31, v141, v31 row_newbcast:11 row_mask:0xf bank_mask:0xf// 000000007DB4: 0A3E3EFA FF015B8D
	v_pk_mul_f32 v[32:33], v[134:135], v[32:33]                // 000000007DBC: D3B14020 18024186
	v_pk_mul_f32 v[34:35], v[134:135], v[34:35]                // 000000007DC4: D3B14022 18024586
	v_mul_f32_dpp v32, v141, v32 row_newbcast:12 row_mask:0xf bank_mask:0xf// 000000007DCC: 0A4040FA FF015C8D
	v_mul_f32_dpp v33, v141, v33 row_newbcast:13 row_mask:0xf bank_mask:0xf// 000000007DD4: 0A4242FA FF015D8D
	v_mul_f32_dpp v34, v141, v34 row_newbcast:14 row_mask:0xf bank_mask:0xf// 000000007DDC: 0A4444FA FF015E8D
	v_mul_f32_dpp v35, v141, v35 row_newbcast:15 row_mask:0xf bank_mask:0xf// 000000007DE4: 0A4646FA FF015F8D
	v_pk_mul_f32 v[36:37], v[136:137], v[36:37]                // 000000007DEC: D3B14024 18024988
	v_pk_mul_f32 v[38:39], v[136:137], v[38:39]                // 000000007DF4: D3B14026 18024D88
	v_mul_f32_dpp v36, v141, v36 row_newbcast:0 row_mask:0xf bank_mask:0xf// 000000007DFC: 0A4848FA FF01508D
	v_mul_f32_dpp v37, v141, v37 row_newbcast:1 row_mask:0xf bank_mask:0xf// 000000007E04: 0A4A4AFA FF01518D
	v_mul_f32_dpp v38, v141, v38 row_newbcast:2 row_mask:0xf bank_mask:0xf// 000000007E0C: 0A4C4CFA FF01528D
	v_mul_f32_dpp v39, v141, v39 row_newbcast:3 row_mask:0xf bank_mask:0xf// 000000007E14: 0A4E4EFA FF01538D
	v_pk_mul_f32 v[40:41], v[136:137], v[40:41]                // 000000007E1C: D3B14028 18025188
	v_pk_mul_f32 v[42:43], v[136:137], v[42:43]                // 000000007E24: D3B1402A 18025588
	v_mul_f32_dpp v40, v141, v40 row_newbcast:4 row_mask:0xf bank_mask:0xf// 000000007E2C: 0A5050FA FF01548D
	v_mul_f32_dpp v41, v141, v41 row_newbcast:5 row_mask:0xf bank_mask:0xf// 000000007E34: 0A5252FA FF01558D
	v_mul_f32_dpp v42, v141, v42 row_newbcast:6 row_mask:0xf bank_mask:0xf// 000000007E3C: 0A5454FA FF01568D
	v_mul_f32_dpp v43, v141, v43 row_newbcast:7 row_mask:0xf bank_mask:0xf// 000000007E44: 0A5656FA FF01578D
	v_pk_mul_f32 v[44:45], v[136:137], v[44:45]                // 000000007E4C: D3B1402C 18025988
	v_pk_mul_f32 v[46:47], v[136:137], v[46:47]                // 000000007E54: D3B1402E 18025D88
	v_mul_f32_dpp v44, v141, v44 row_newbcast:8 row_mask:0xf bank_mask:0xf// 000000007E5C: 0A5858FA FF01588D
	v_mul_f32_dpp v45, v141, v45 row_newbcast:9 row_mask:0xf bank_mask:0xf// 000000007E64: 0A5A5AFA FF01598D
	v_mul_f32_dpp v46, v141, v46 row_newbcast:10 row_mask:0xf bank_mask:0xf// 000000007E6C: 0A5C5CFA FF015A8D
	v_mul_f32_dpp v47, v141, v47 row_newbcast:11 row_mask:0xf bank_mask:0xf// 000000007E74: 0A5E5EFA FF015B8D
	v_pk_mul_f32 v[48:49], v[136:137], v[48:49]                // 000000007E7C: D3B14030 18026188
	v_pk_mul_f32 v[50:51], v[136:137], v[50:51]                // 000000007E84: D3B14032 18026588
	v_mul_f32_dpp v48, v141, v48 row_newbcast:12 row_mask:0xf bank_mask:0xf// 000000007E8C: 0A6060FA FF015C8D
	v_mul_f32_dpp v49, v141, v49 row_newbcast:13 row_mask:0xf bank_mask:0xf// 000000007E94: 0A6262FA FF015D8D
	v_mul_f32_dpp v50, v141, v50 row_newbcast:14 row_mask:0xf bank_mask:0xf// 000000007E9C: 0A6464FA FF015E8D
	v_mul_f32_dpp v51, v141, v51 row_newbcast:15 row_mask:0xf bank_mask:0xf// 000000007EA4: 0A6666FA FF015F8D
	v_pk_mul_f32 v[52:53], v[138:139], v[52:53]                // 000000007EAC: D3B14034 1802698A
	v_pk_mul_f32 v[54:55], v[138:139], v[54:55]                // 000000007EB4: D3B14036 18026D8A
	v_mul_f32_dpp v52, v141, v52 row_newbcast:0 row_mask:0xf bank_mask:0xf// 000000007EBC: 0A6868FA FF01508D
	v_mul_f32_dpp v53, v141, v53 row_newbcast:1 row_mask:0xf bank_mask:0xf// 000000007EC4: 0A6A6AFA FF01518D
	v_mul_f32_dpp v54, v141, v54 row_newbcast:2 row_mask:0xf bank_mask:0xf// 000000007ECC: 0A6C6CFA FF01528D
	v_mul_f32_dpp v55, v141, v55 row_newbcast:3 row_mask:0xf bank_mask:0xf// 000000007ED4: 0A6E6EFA FF01538D
	v_pk_mul_f32 v[56:57], v[138:139], v[56:57]                // 000000007EDC: D3B14038 1802718A
	v_pk_mul_f32 v[58:59], v[138:139], v[58:59]                // 000000007EE4: D3B1403A 1802758A
	v_mul_f32_dpp v56, v141, v56 row_newbcast:4 row_mask:0xf bank_mask:0xf// 000000007EEC: 0A7070FA FF01548D
	v_mul_f32_dpp v57, v141, v57 row_newbcast:5 row_mask:0xf bank_mask:0xf// 000000007EF4: 0A7272FA FF01558D
	v_mul_f32_dpp v58, v141, v58 row_newbcast:6 row_mask:0xf bank_mask:0xf// 000000007EFC: 0A7474FA FF01568D
	v_mul_f32_dpp v59, v141, v59 row_newbcast:7 row_mask:0xf bank_mask:0xf// 000000007F04: 0A7676FA FF01578D
	v_pk_mul_f32 v[60:61], v[138:139], v[60:61]                // 000000007F0C: D3B1403C 1802798A
	v_pk_mul_f32 v[62:63], v[138:139], v[62:63]                // 000000007F14: D3B1403E 18027D8A
	v_mul_f32_dpp v60, v141, v60 row_newbcast:8 row_mask:0xf bank_mask:0xf// 000000007F1C: 0A7878FA FF01588D
	v_mul_f32_dpp v61, v141, v61 row_newbcast:9 row_mask:0xf bank_mask:0xf// 000000007F24: 0A7A7AFA FF01598D
	v_mul_f32_dpp v62, v141, v62 row_newbcast:10 row_mask:0xf bank_mask:0xf// 000000007F2C: 0A7C7CFA FF015A8D
	v_mul_f32_dpp v63, v141, v63 row_newbcast:11 row_mask:0xf bank_mask:0xf// 000000007F34: 0A7E7EFA FF015B8D
	v_pk_mul_f32 v[64:65], v[138:139], v[64:65]                // 000000007F3C: D3B14040 1802818A
	v_pk_mul_f32 v[66:67], v[138:139], v[66:67]                // 000000007F44: D3B14042 1802858A
	v_mul_f32_dpp v64, v141, v64 row_newbcast:12 row_mask:0xf bank_mask:0xf// 000000007F4C: 0A8080FA FF015C8D
	v_mul_f32_dpp v65, v141, v65 row_newbcast:13 row_mask:0xf bank_mask:0xf// 000000007F54: 0A8282FA FF015D8D
	v_mul_f32_dpp v66, v141, v66 row_newbcast:14 row_mask:0xf bank_mask:0xf// 000000007F5C: 0A8484FA FF015E8D
	v_mul_f32_dpp v67, v141, v67 row_newbcast:15 row_mask:0xf bank_mask:0xf// 000000007F64: 0A8686FA FF015F8D
	v_mov_b32_e32 v176, v4                                     // 000000007F6C: 7F600304
	v_max3_f32 v176, v4, v5, v176                              // 000000007F70: D1D300B0 06C20B04
	v_max3_f32 v176, v6, v7, v176                              // 000000007F78: D1D300B0 06C20F06
	v_max3_f32 v176, v8, v9, v176                              // 000000007F80: D1D300B0 06C21308
	v_max3_f32 v176, v10, v11, v176                            // 000000007F88: D1D300B0 06C2170A
	v_max3_f32 v176, v12, v13, v176                            // 000000007F90: D1D300B0 06C21B0C
	v_max3_f32 v176, v14, v15, v176                            // 000000007F98: D1D300B0 06C21F0E
	v_max3_f32 v176, v16, v17, v176                            // 000000007FA0: D1D300B0 06C22310
	v_max3_f32 v176, v18, v19, v176                            // 000000007FA8: D1D300B0 06C22712
	v_mov_b32_e32 v177, v20                                    // 000000007FB0: 7F620314
	v_max3_f32 v177, v20, v21, v177                            // 000000007FB4: D1D300B1 06C62B14
	v_max3_f32 v177, v22, v23, v177                            // 000000007FBC: D1D300B1 06C62F16
	v_max3_f32 v177, v24, v25, v177                            // 000000007FC4: D1D300B1 06C63318
	v_max3_f32 v177, v26, v27, v177                            // 000000007FCC: D1D300B1 06C6371A
	v_max3_f32 v177, v28, v29, v177                            // 000000007FD4: D1D300B1 06C63B1C
	v_max3_f32 v177, v30, v31, v177                            // 000000007FDC: D1D300B1 06C63F1E
	v_max3_f32 v177, v32, v33, v177                            // 000000007FE4: D1D300B1 06C64320
	v_max3_f32 v177, v34, v35, v177                            // 000000007FEC: D1D300B1 06C64722
	v_mov_b32_e32 v178, v36                                    // 000000007FF4: 7F640324
	v_max3_f32 v178, v36, v37, v178                            // 000000007FF8: D1D300B2 06CA4B24
	v_max3_f32 v178, v38, v39, v178                            // 000000008000: D1D300B2 06CA4F26
	v_max3_f32 v178, v40, v41, v178                            // 000000008008: D1D300B2 06CA5328
	v_max3_f32 v178, v42, v43, v178                            // 000000008010: D1D300B2 06CA572A
	v_max3_f32 v178, v44, v45, v178                            // 000000008018: D1D300B2 06CA5B2C
	v_max3_f32 v178, v46, v47, v178                            // 000000008020: D1D300B2 06CA5F2E
	v_max3_f32 v178, v48, v49, v178                            // 000000008028: D1D300B2 06CA6330
	v_max3_f32 v178, v50, v51, v178                            // 000000008030: D1D300B2 06CA6732
	v_mov_b32_e32 v179, v52                                    // 000000008038: 7F660334
	v_max3_f32 v179, v52, v53, v179                            // 00000000803C: D1D300B3 06CE6B34
	v_max3_f32 v179, v54, v55, v179                            // 000000008044: D1D300B3 06CE6F36
	v_max3_f32 v179, v56, v57, v179                            // 00000000804C: D1D300B3 06CE7338
	v_max3_f32 v179, v58, v59, v179                            // 000000008054: D1D300B3 06CE773A
	v_max3_f32 v179, v60, v61, v179                            // 00000000805C: D1D300B3 06CE7B3C
	v_max3_f32 v179, v62, v63, v179                            // 000000008064: D1D300B3 06CE7F3E
	v_max3_f32 v179, v64, v65, v179                            // 00000000806C: D1D300B3 06CE8340
	v_max3_f32 v179, v66, v67, v179                            // 000000008074: D1D300B3 06CE8742
	ds_bpermute_b32 v180, v200, v176                           // 00000000807C: D87E0000 B400B0C8
	ds_bpermute_b32 v181, v201, v176                           // 000000008084: D87E0000 B500B0C9
	ds_bpermute_b32 v182, v202, v176                           // 00000000808C: D87E0000 B600B0CA
	ds_bpermute_b32 v183, v200, v177                           // 000000008094: D87E0000 B700B1C8
	ds_bpermute_b32 v184, v201, v177                           // 00000000809C: D87E0000 B800B1C9
	ds_bpermute_b32 v185, v202, v177                           // 0000000080A4: D87E0000 B900B1CA
	ds_bpermute_b32 v186, v200, v178                           // 0000000080AC: D87E0000 BA00B2C8
	ds_bpermute_b32 v187, v201, v178                           // 0000000080B4: D87E0000 BB00B2C9
	ds_bpermute_b32 v188, v202, v178                           // 0000000080BC: D87E0000 BC00B2CA
	ds_bpermute_b32 v189, v200, v179                           // 0000000080C4: D87E0000 BD00B3C8
	ds_bpermute_b32 v190, v201, v179                           // 0000000080CC: D87E0000 BE00B3C9
	ds_bpermute_b32 v191, v202, v179                           // 0000000080D4: D87E0000 BF00B3CA
	v_pk_mul_f32 v[100:101], v[160:161], v[100:101]            // 0000000080DC: D3B14064 1802C9A0
	v_pk_mul_f32 v[102:103], v[160:161], v[102:103]            // 0000000080E4: D3B14066 1802CDA0
	v_pk_mul_f32 v[104:105], v[160:161], v[104:105]            // 0000000080EC: D3B14068 1802D1A0
	v_pk_mul_f32 v[106:107], v[160:161], v[106:107]            // 0000000080F4: D3B1406A 1802D5A0
	v_pk_mul_f32 v[108:109], v[162:163], v[108:109]            // 0000000080FC: D3B1406C 1802D9A2
	v_pk_mul_f32 v[110:111], v[162:163], v[110:111]            // 000000008104: D3B1406E 1802DDA2
	v_pk_mul_f32 v[112:113], v[162:163], v[112:113]            // 00000000810C: D3B14070 1802E1A2
	v_pk_mul_f32 v[114:115], v[162:163], v[114:115]            // 000000008114: D3B14072 1802E5A2
	v_pk_mul_f32 v[116:117], v[164:165], v[116:117]            // 00000000811C: D3B14074 1802E9A4
	v_pk_mul_f32 v[118:119], v[164:165], v[118:119]            // 000000008124: D3B14076 1802EDA4
	v_pk_mul_f32 v[120:121], v[164:165], v[120:121]            // 00000000812C: D3B14078 1802F1A4
	v_pk_mul_f32 v[122:123], v[164:165], v[122:123]            // 000000008134: D3B1407A 1802F5A4
	v_pk_mul_f32 v[124:125], v[166:167], v[124:125]            // 00000000813C: D3B1407C 1802F9A6
	v_pk_mul_f32 v[126:127], v[166:167], v[126:127]            // 000000008144: D3B1407E 1802FDA6
	v_pk_mul_f32 v[128:129], v[166:167], v[128:129]            // 00000000814C: D3B14080 180301A6
	v_pk_mul_f32 v[130:131], v[166:167], v[130:131]            // 000000008154: D3B14082 180305A6
	s_waitcnt lgkmcnt(9)                                       // 00000000815C: BF8CC97F
	v_max3_f32 v176, v180, v181, v176                          // 000000008160: D1D300B0 06C36BB4
	v_max_f32_e32 v176, v182, v176                             // 000000008168: 176161B6
	s_waitcnt lgkmcnt(6)                                       // 00000000816C: BF8CC67F
	v_max3_f32 v177, v183, v184, v177                          // 000000008170: D1D300B1 06C771B7
	v_max_f32_e32 v177, v185, v177                             // 000000008178: 176363B9
	s_waitcnt lgkmcnt(3)                                       // 00000000817C: BF8CC37F
	v_max3_f32 v178, v186, v187, v178                          // 000000008180: D1D300B2 06CB77BA
	v_max_f32_e32 v178, v188, v178                             // 000000008188: 176565BC
	s_waitcnt lgkmcnt(0)                                       // 00000000818C: BF8CC07F
	v_max3_f32 v179, v189, v190, v179                          // 000000008190: D1D300B3 06CF7DBD
	v_max_f32_e32 v179, v191, v179                             // 000000008198: 176767BF
	ds_write_b128 v247, v[176:179]                             // 00000000819C: D9BE0000 0000B0F7
	s_waitcnt lgkmcnt(0)                                       // 0000000081A4: BF8CC07F
	s_barrier                                                  // 0000000081A8: BF8A0000
	ds_read_b128 v[180:183], v248                              // 0000000081AC: D9FE0000 B40000F8
	ds_read_b128 v[184:187], v248 offset:256                   // 0000000081B4: D9FE0100 B80000F8
	ds_read_b128 v[188:191], v248 offset:512                   // 0000000081BC: D9FE0200 BC0000F8
	ds_read_b128 v[192:195], v248 offset:768                   // 0000000081C4: D9FE0300 C00000F8
	v_pk_mul_f32 v[68:69], v[144:145], v[68:69]                // 0000000081CC: D3B14044 18028990
	v_pk_mul_f32 v[70:71], v[144:145], v[70:71]                // 0000000081D4: D3B14046 18028D90
	v_pk_mul_f32 v[72:73], v[144:145], v[72:73]                // 0000000081DC: D3B14048 18029190
	v_pk_mul_f32 v[74:75], v[144:145], v[74:75]                // 0000000081E4: D3B1404A 18029590
	v_pk_mul_f32 v[76:77], v[146:147], v[76:77]                // 0000000081EC: D3B1404C 18029992
	v_pk_mul_f32 v[78:79], v[146:147], v[78:79]                // 0000000081F4: D3B1404E 18029D92
	v_pk_mul_f32 v[80:81], v[146:147], v[80:81]                // 0000000081FC: D3B14050 1802A192
	v_pk_mul_f32 v[82:83], v[146:147], v[82:83]                // 000000008204: D3B14052 1802A592
	v_pk_mul_f32 v[84:85], v[148:149], v[84:85]                // 00000000820C: D3B14054 1802A994
	v_pk_mul_f32 v[86:87], v[148:149], v[86:87]                // 000000008214: D3B14056 1802AD94
	v_pk_mul_f32 v[88:89], v[148:149], v[88:89]                // 00000000821C: D3B14058 1802B194
	v_pk_mul_f32 v[90:91], v[148:149], v[90:91]                // 000000008224: D3B1405A 1802B594
	v_pk_mul_f32 v[92:93], v[150:151], v[92:93]                // 00000000822C: D3B1405C 1802B996
	v_pk_mul_f32 v[94:95], v[150:151], v[94:95]                // 000000008234: D3B1405E 1802BD96
	v_pk_mul_f32 v[96:97], v[150:151], v[96:97]                // 00000000823C: D3B14060 1802C196
	v_pk_mul_f32 v[98:99], v[150:151], v[98:99]                // 000000008244: D3B14062 1802C596
	s_waitcnt lgkmcnt(0)                                       // 00000000824C: BF8CC07F
	v_max3_f32 v176, v180, v184, v176                          // 000000008250: D1D300B0 06C371B4
	v_max3_f32 v177, v181, v185, v177                          // 000000008258: D1D300B1 06C773B5
	v_max3_f32 v178, v182, v186, v178                          // 000000008260: D1D300B2 06CB75B6
	v_max3_f32 v179, v183, v187, v179                          // 000000008268: D1D300B3 06CF77B7
	v_max3_f32 v176, v188, v192, v176                          // 000000008270: D1D300B0 06C381BC
	v_max3_f32 v177, v189, v193, v177                          // 000000008278: D1D300B1 06C783BD
	v_max3_f32 v178, v190, v194, v178                          // 000000008280: D1D300B2 06CB85BE
	v_max3_f32 v179, v191, v195, v179                          // 000000008288: D1D300B3 06CF87BF
	v_max_f32_e32 v156, v176, v152                             // 000000008290: 173931B0
	v_mul_f32_e64 v196, -s46, v156                             // 000000008294: D10500C4 2003382E
	v_mov_b32_e32 v197, v196                                   // 00000000829C: 7F8A03C4
	v_pk_fma_f32 v[4:5], v[4:5], s[46:47], v[196:197]          // 0000000082A0: D3B04004 1F105D04
	v_pk_fma_f32 v[6:7], v[6:7], s[46:47], v[196:197]          // 0000000082A8: D3B04006 1F105D06
	v_exp_f32_e32 v4, v4                                       // 0000000082B0: 7E084104
	v_exp_f32_e32 v5, v5                                       // 0000000082B4: 7E0A4105
	v_exp_f32_e32 v6, v6                                       // 0000000082B8: 7E0C4106
	v_exp_f32_e32 v7, v7                                       // 0000000082BC: 7E0E4107
	v_pk_fma_f32 v[8:9], v[8:9], s[46:47], v[196:197]          // 0000000082C0: D3B04008 1F105D08
	v_pk_fma_f32 v[10:11], v[10:11], s[46:47], v[196:197]      // 0000000082C8: D3B0400A 1F105D0A
	v_exp_f32_e32 v8, v8                                       // 0000000082D0: 7E104108
	v_exp_f32_e32 v9, v9                                       // 0000000082D4: 7E124109
	v_exp_f32_e32 v10, v10                                     // 0000000082D8: 7E14410A
	v_exp_f32_e32 v11, v11                                     // 0000000082DC: 7E16410B
	v_pk_fma_f32 v[12:13], v[12:13], s[46:47], v[196:197]      // 0000000082E0: D3B0400C 1F105D0C
	v_pk_fma_f32 v[14:15], v[14:15], s[46:47], v[196:197]      // 0000000082E8: D3B0400E 1F105D0E
	v_exp_f32_e32 v12, v12                                     // 0000000082F0: 7E18410C
	v_exp_f32_e32 v13, v13                                     // 0000000082F4: 7E1A410D
	v_exp_f32_e32 v14, v14                                     // 0000000082F8: 7E1C410E
	v_exp_f32_e32 v15, v15                                     // 0000000082FC: 7E1E410F
	v_pk_fma_f32 v[16:17], v[16:17], s[46:47], v[196:197]      // 000000008300: D3B04010 1F105D10
	v_pk_fma_f32 v[18:19], v[18:19], s[46:47], v[196:197]      // 000000008308: D3B04012 1F105D12
	v_exp_f32_e32 v16, v16                                     // 000000008310: 7E204110
	v_exp_f32_e32 v17, v17                                     // 000000008314: 7E224111
	v_exp_f32_e32 v18, v18                                     // 000000008318: 7E244112
	v_exp_f32_e32 v19, v19                                     // 00000000831C: 7E264113
	v_max_f32_e32 v157, v177, v153                             // 000000008320: 173B33B1
	v_mul_f32_e64 v196, -s46, v157                             // 000000008324: D10500C4 20033A2E
	v_mov_b32_e32 v197, v196                                   // 00000000832C: 7F8A03C4
	v_pk_fma_f32 v[20:21], v[20:21], s[46:47], v[196:197]      // 000000008330: D3B04014 1F105D14
	v_pk_fma_f32 v[22:23], v[22:23], s[46:47], v[196:197]      // 000000008338: D3B04016 1F105D16
	v_exp_f32_e32 v20, v20                                     // 000000008340: 7E284114
	v_exp_f32_e32 v21, v21                                     // 000000008344: 7E2A4115
	v_exp_f32_e32 v22, v22                                     // 000000008348: 7E2C4116
	v_exp_f32_e32 v23, v23                                     // 00000000834C: 7E2E4117
	v_pk_fma_f32 v[24:25], v[24:25], s[46:47], v[196:197]      // 000000008350: D3B04018 1F105D18
	v_pk_fma_f32 v[26:27], v[26:27], s[46:47], v[196:197]      // 000000008358: D3B0401A 1F105D1A
	v_exp_f32_e32 v24, v24                                     // 000000008360: 7E304118
	v_exp_f32_e32 v25, v25                                     // 000000008364: 7E324119
	v_exp_f32_e32 v26, v26                                     // 000000008368: 7E34411A
	v_exp_f32_e32 v27, v27                                     // 00000000836C: 7E36411B
	v_pk_fma_f32 v[28:29], v[28:29], s[46:47], v[196:197]      // 000000008370: D3B0401C 1F105D1C
	v_pk_fma_f32 v[30:31], v[30:31], s[46:47], v[196:197]      // 000000008378: D3B0401E 1F105D1E
	v_exp_f32_e32 v28, v28                                     // 000000008380: 7E38411C
	v_exp_f32_e32 v29, v29                                     // 000000008384: 7E3A411D
	v_exp_f32_e32 v30, v30                                     // 000000008388: 7E3C411E
	v_exp_f32_e32 v31, v31                                     // 00000000838C: 7E3E411F
	v_pk_fma_f32 v[32:33], v[32:33], s[46:47], v[196:197]      // 000000008390: D3B04020 1F105D20
	v_pk_fma_f32 v[34:35], v[34:35], s[46:47], v[196:197]      // 000000008398: D3B04022 1F105D22
	v_exp_f32_e32 v32, v32                                     // 0000000083A0: 7E404120
	v_exp_f32_e32 v33, v33                                     // 0000000083A4: 7E424121
	v_exp_f32_e32 v34, v34                                     // 0000000083A8: 7E444122
	v_exp_f32_e32 v35, v35                                     // 0000000083AC: 7E464123
	v_max_f32_e32 v158, v178, v154                             // 0000000083B0: 173D35B2
	v_mul_f32_e64 v196, -s46, v158                             // 0000000083B4: D10500C4 20033C2E
	v_mov_b32_e32 v197, v196                                   // 0000000083BC: 7F8A03C4
	v_pk_fma_f32 v[36:37], v[36:37], s[46:47], v[196:197]      // 0000000083C0: D3B04024 1F105D24
	v_pk_fma_f32 v[38:39], v[38:39], s[46:47], v[196:197]      // 0000000083C8: D3B04026 1F105D26
	v_exp_f32_e32 v36, v36                                     // 0000000083D0: 7E484124
	v_exp_f32_e32 v37, v37                                     // 0000000083D4: 7E4A4125
	v_exp_f32_e32 v38, v38                                     // 0000000083D8: 7E4C4126
	v_exp_f32_e32 v39, v39                                     // 0000000083DC: 7E4E4127
	v_pk_fma_f32 v[40:41], v[40:41], s[46:47], v[196:197]      // 0000000083E0: D3B04028 1F105D28
	v_pk_fma_f32 v[42:43], v[42:43], s[46:47], v[196:197]      // 0000000083E8: D3B0402A 1F105D2A
	v_exp_f32_e32 v40, v40                                     // 0000000083F0: 7E504128
	v_exp_f32_e32 v41, v41                                     // 0000000083F4: 7E524129
	v_exp_f32_e32 v42, v42                                     // 0000000083F8: 7E54412A
	v_exp_f32_e32 v43, v43                                     // 0000000083FC: 7E56412B
	v_pk_fma_f32 v[44:45], v[44:45], s[46:47], v[196:197]      // 000000008400: D3B0402C 1F105D2C
	v_pk_fma_f32 v[46:47], v[46:47], s[46:47], v[196:197]      // 000000008408: D3B0402E 1F105D2E
	v_exp_f32_e32 v44, v44                                     // 000000008410: 7E58412C
	v_exp_f32_e32 v45, v45                                     // 000000008414: 7E5A412D
	v_exp_f32_e32 v46, v46                                     // 000000008418: 7E5C412E
	v_exp_f32_e32 v47, v47                                     // 00000000841C: 7E5E412F
	v_pk_fma_f32 v[48:49], v[48:49], s[46:47], v[196:197]      // 000000008420: D3B04030 1F105D30
	v_pk_fma_f32 v[50:51], v[50:51], s[46:47], v[196:197]      // 000000008428: D3B04032 1F105D32
	v_exp_f32_e32 v48, v48                                     // 000000008430: 7E604130
	v_exp_f32_e32 v49, v49                                     // 000000008434: 7E624131
	v_exp_f32_e32 v50, v50                                     // 000000008438: 7E644132
	v_exp_f32_e32 v51, v51                                     // 00000000843C: 7E664133
	v_max_f32_e32 v159, v179, v155                             // 000000008440: 173F37B3
	v_mul_f32_e64 v196, -s46, v159                             // 000000008444: D10500C4 20033E2E
	v_mov_b32_e32 v197, v196                                   // 00000000844C: 7F8A03C4
	v_pk_fma_f32 v[52:53], v[52:53], s[46:47], v[196:197]      // 000000008450: D3B04034 1F105D34
	v_pk_fma_f32 v[54:55], v[54:55], s[46:47], v[196:197]      // 000000008458: D3B04036 1F105D36
	v_exp_f32_e32 v52, v52                                     // 000000008460: 7E684134
	v_exp_f32_e32 v53, v53                                     // 000000008464: 7E6A4135
	v_exp_f32_e32 v54, v54                                     // 000000008468: 7E6C4136
	v_exp_f32_e32 v55, v55                                     // 00000000846C: 7E6E4137
	v_pk_fma_f32 v[56:57], v[56:57], s[46:47], v[196:197]      // 000000008470: D3B04038 1F105D38
	v_pk_fma_f32 v[58:59], v[58:59], s[46:47], v[196:197]      // 000000008478: D3B0403A 1F105D3A
	v_exp_f32_e32 v56, v56                                     // 000000008480: 7E704138
	v_exp_f32_e32 v57, v57                                     // 000000008484: 7E724139
	v_exp_f32_e32 v58, v58                                     // 000000008488: 7E74413A
	v_exp_f32_e32 v59, v59                                     // 00000000848C: 7E76413B
	v_pk_fma_f32 v[60:61], v[60:61], s[46:47], v[196:197]      // 000000008490: D3B0403C 1F105D3C
	v_pk_fma_f32 v[62:63], v[62:63], s[46:47], v[196:197]      // 000000008498: D3B0403E 1F105D3E
	v_exp_f32_e32 v60, v60                                     // 0000000084A0: 7E78413C
	v_exp_f32_e32 v61, v61                                     // 0000000084A4: 7E7A413D
	v_exp_f32_e32 v62, v62                                     // 0000000084A8: 7E7C413E
	v_exp_f32_e32 v63, v63                                     // 0000000084AC: 7E7E413F
	v_pk_fma_f32 v[64:65], v[64:65], s[46:47], v[196:197]      // 0000000084B0: D3B04040 1F105D40
	v_pk_fma_f32 v[66:67], v[66:67], s[46:47], v[196:197]      // 0000000084B8: D3B04042 1F105D42
	v_exp_f32_e32 v64, v64                                     // 0000000084C0: 7E804140
	v_exp_f32_e32 v65, v65                                     // 0000000084C4: 7E824141
	v_exp_f32_e32 v66, v66                                     // 0000000084C8: 7E844142
	v_exp_f32_e32 v67, v67                                     // 0000000084CC: 7E864143
	v_sub_f32_e32 v160, v152, v156                             // 0000000084D0: 05413998
	v_cmp_eq_u32_e64 s[98:99], v216, v152                      // 0000000084D4: D0CA0062 000331D8
	v_cndmask_b32_e64 v160, v160, 0, s[98:99]                  // 0000000084DC: D10000A0 018901A0
	v_mov_b32_e32 v152, v156                                   // 0000000084E4: 7F30039C
	v_mul_f32_e32 v160, s46, v160                              // 0000000084E8: 0B41402E
	v_exp_f32_e32 v160, v160                                   // 0000000084EC: 7F4041A0
	v_sub_f32_e32 v162, v153, v157                             // 0000000084F0: 05453B99
	v_cmp_eq_u32_e64 s[98:99], v216, v153                      // 0000000084F4: D0CA0062 000333D8
	v_cndmask_b32_e64 v162, v162, 0, s[98:99]                  // 0000000084FC: D10000A2 018901A2
	v_mov_b32_e32 v153, v157                                   // 000000008504: 7F32039D
	v_mul_f32_e32 v162, s46, v162                              // 000000008508: 0B45442E
	v_exp_f32_e32 v162, v162                                   // 00000000850C: 7F4441A2
	v_sub_f32_e32 v164, v154, v158                             // 000000008510: 05493D9A
	v_cmp_eq_u32_e64 s[98:99], v216, v154                      // 000000008514: D0CA0062 000335D8
	v_cndmask_b32_e64 v164, v164, 0, s[98:99]                  // 00000000851C: D10000A4 018901A4
	v_mov_b32_e32 v154, v158                                   // 000000008524: 7F34039E
	v_mul_f32_e32 v164, s46, v164                              // 000000008528: 0B49482E
	v_exp_f32_e32 v164, v164                                   // 00000000852C: 7F4841A4
	v_sub_f32_e32 v166, v155, v159                             // 000000008530: 054D3F9B
	v_cmp_eq_u32_e64 s[98:99], v216, v155                      // 000000008534: D0CA0062 000337D8
	v_cndmask_b32_e64 v166, v166, 0, s[98:99]                  // 00000000853C: D10000A6 018901A6
	v_mov_b32_e32 v155, v159                                   // 000000008544: 7F36039F
	v_mul_f32_e32 v166, s46, v166                              // 000000008548: 0B4D4C2E
	v_exp_f32_e32 v166, v166                                   // 00000000854C: 7F4C41A6
	v_mov_b32_e32 v161, v160                                   // 000000008550: 7F4203A0
	v_mov_b32_e32 v163, v162                                   // 000000008554: 7F4603A2
	v_mov_b32_e32 v165, v164                                   // 000000008558: 7F4A03A4
	v_mov_b32_e32 v167, v166                                   // 00000000855C: 7F4E03A6
	v_mul_f32_e32 v168, v160, v168                             // 000000008560: 0B5151A0
	v_mov_b32_e32 v169, 0                                      // 000000008564: 7F520280
	v_pk_add_f32 v[168:169], v[4:5], v[168:169]                // 000000008568: D3B240A8 18035104
	v_pk_add_f32 v[168:169], v[6:7], v[168:169]                // 000000008570: D3B240A8 18035106
	;; [unrolled: 1-line block ×3, first 2 shown]
	v_pk_add_f32 v[168:169], v[10:11], v[168:169]              // 000000008580: D3B240A8 1803510A
	v_pk_add_f32 v[168:169], v[12:13], v[168:169]              // 000000008588: D3B240A8 1803510C
	v_pk_add_f32 v[168:169], v[14:15], v[168:169]              // 000000008590: D3B240A8 1803510E
	v_pk_add_f32 v[168:169], v[16:17], v[168:169]              // 000000008598: D3B240A8 18035110
	v_pk_add_f32 v[168:169], v[18:19], v[168:169]              // 0000000085A0: D3B240A8 18035112
	v_add_f32_e32 v168, v169, v168                             // 0000000085A8: 035151A9
	v_mul_f32_e32 v170, v162, v170                             // 0000000085AC: 0B5555A2
	v_mov_b32_e32 v171, 0                                      // 0000000085B0: 7F560280
	v_pk_add_f32 v[170:171], v[20:21], v[170:171]              // 0000000085B4: D3B240AA 18035514
	v_pk_add_f32 v[170:171], v[22:23], v[170:171]              // 0000000085BC: D3B240AA 18035516
	v_pk_add_f32 v[170:171], v[24:25], v[170:171]              // 0000000085C4: D3B240AA 18035518
	v_pk_add_f32 v[170:171], v[26:27], v[170:171]              // 0000000085CC: D3B240AA 1803551A
	v_pk_add_f32 v[170:171], v[28:29], v[170:171]              // 0000000085D4: D3B240AA 1803551C
	v_pk_add_f32 v[170:171], v[30:31], v[170:171]              // 0000000085DC: D3B240AA 1803551E
	v_pk_add_f32 v[170:171], v[32:33], v[170:171]              // 0000000085E4: D3B240AA 18035520
	v_pk_add_f32 v[170:171], v[34:35], v[170:171]              // 0000000085EC: D3B240AA 18035522
	v_add_f32_e32 v170, v171, v170                             // 0000000085F4: 035555AB
	v_mul_f32_e32 v172, v164, v172                             // 0000000085F8: 0B5959A4
	v_mov_b32_e32 v173, 0                                      // 0000000085FC: 7F5A0280
	v_pk_add_f32 v[172:173], v[36:37], v[172:173]              // 000000008600: D3B240AC 18035924
	v_pk_add_f32 v[172:173], v[38:39], v[172:173]              // 000000008608: D3B240AC 18035926
	;; [unrolled: 1-line block ×3, first 2 shown]
	v_pk_add_f32 v[172:173], v[42:43], v[172:173]              // 000000008618: D3B240AC 1803592A
	v_pk_add_f32 v[172:173], v[44:45], v[172:173]              // 000000008620: D3B240AC 1803592C
	v_pk_add_f32 v[172:173], v[46:47], v[172:173]              // 000000008628: D3B240AC 1803592E
	v_pk_add_f32 v[172:173], v[48:49], v[172:173]              // 000000008630: D3B240AC 18035930
	v_pk_add_f32 v[172:173], v[50:51], v[172:173]              // 000000008638: D3B240AC 18035932
	v_add_f32_e32 v172, v173, v172                             // 000000008640: 035959AD
	v_mul_f32_e32 v174, v166, v174                             // 000000008644: 0B5D5DA6
	v_mov_b32_e32 v175, 0                                      // 000000008648: 7F5E0280
	v_pk_add_f32 v[174:175], v[52:53], v[174:175]              // 00000000864C: D3B240AE 18035D34
	v_pk_add_f32 v[174:175], v[54:55], v[174:175]              // 000000008654: D3B240AE 18035D36
	v_pk_add_f32 v[174:175], v[56:57], v[174:175]              // 00000000865C: D3B240AE 18035D38
	v_pk_add_f32 v[174:175], v[58:59], v[174:175]              // 000000008664: D3B240AE 18035D3A
	v_pk_add_f32 v[174:175], v[60:61], v[174:175]              // 00000000866C: D3B240AE 18035D3C
	v_pk_add_f32 v[174:175], v[62:63], v[174:175]              // 000000008674: D3B240AE 18035D3E
	v_pk_add_f32 v[174:175], v[64:65], v[174:175]              // 00000000867C: D3B240AE 18035D40
	v_pk_add_f32 v[174:175], v[66:67], v[174:175]              // 000000008684: D3B240AE 18035D42
	v_add_f32_e32 v174, v175, v174                             // 00000000868C: 035D5DAF
	v_mul_f32_dpp v4, v143, v4 row_newbcast:0 row_mask:0xf bank_mask:0xf// 000000008690: 0A0808FA FF01508F
	v_mul_f32_dpp v5, v143, v5 row_newbcast:1 row_mask:0xf bank_mask:0xf// 000000008698: 0A0A0AFA FF01518F
	v_mul_f32_dpp v6, v143, v6 row_newbcast:2 row_mask:0xf bank_mask:0xf// 0000000086A0: 0A0C0CFA FF01528F
	v_mul_f32_dpp v7, v143, v7 row_newbcast:3 row_mask:0xf bank_mask:0xf// 0000000086A8: 0A0E0EFA FF01538F
	v_mul_f32_dpp v8, v143, v8 row_newbcast:4 row_mask:0xf bank_mask:0xf// 0000000086B0: 0A1010FA FF01548F
	v_mul_f32_dpp v9, v143, v9 row_newbcast:5 row_mask:0xf bank_mask:0xf// 0000000086B8: 0A1212FA FF01558F
	v_mul_f32_dpp v10, v143, v10 row_newbcast:6 row_mask:0xf bank_mask:0xf// 0000000086C0: 0A1414FA FF01568F
	v_mul_f32_dpp v11, v143, v11 row_newbcast:7 row_mask:0xf bank_mask:0xf// 0000000086C8: 0A1616FA FF01578F
	v_mul_f32_dpp v12, v143, v12 row_newbcast:8 row_mask:0xf bank_mask:0xf// 0000000086D0: 0A1818FA FF01588F
	v_mul_f32_dpp v13, v143, v13 row_newbcast:9 row_mask:0xf bank_mask:0xf// 0000000086D8: 0A1A1AFA FF01598F
	v_mul_f32_dpp v14, v143, v14 row_newbcast:10 row_mask:0xf bank_mask:0xf// 0000000086E0: 0A1C1CFA FF015A8F
	v_mul_f32_dpp v15, v143, v15 row_newbcast:11 row_mask:0xf bank_mask:0xf// 0000000086E8: 0A1E1EFA FF015B8F
	v_mul_f32_dpp v16, v143, v16 row_newbcast:12 row_mask:0xf bank_mask:0xf// 0000000086F0: 0A2020FA FF015C8F
	v_mul_f32_dpp v17, v143, v17 row_newbcast:13 row_mask:0xf bank_mask:0xf// 0000000086F8: 0A2222FA FF015D8F
	v_mul_f32_dpp v18, v143, v18 row_newbcast:14 row_mask:0xf bank_mask:0xf// 000000008700: 0A2424FA FF015E8F
	v_mul_f32_dpp v19, v143, v19 row_newbcast:15 row_mask:0xf bank_mask:0xf// 000000008708: 0A2626FA FF015F8F
	v_mul_f32_dpp v20, v143, v20 row_newbcast:0 row_mask:0xf bank_mask:0xf// 000000008710: 0A2828FA FF01508F
	v_mul_f32_dpp v21, v143, v21 row_newbcast:1 row_mask:0xf bank_mask:0xf// 000000008718: 0A2A2AFA FF01518F
	v_mul_f32_dpp v22, v143, v22 row_newbcast:2 row_mask:0xf bank_mask:0xf// 000000008720: 0A2C2CFA FF01528F
	v_mul_f32_dpp v23, v143, v23 row_newbcast:3 row_mask:0xf bank_mask:0xf// 000000008728: 0A2E2EFA FF01538F
	v_mul_f32_dpp v24, v143, v24 row_newbcast:4 row_mask:0xf bank_mask:0xf// 000000008730: 0A3030FA FF01548F
	v_mul_f32_dpp v25, v143, v25 row_newbcast:5 row_mask:0xf bank_mask:0xf// 000000008738: 0A3232FA FF01558F
	v_mul_f32_dpp v26, v143, v26 row_newbcast:6 row_mask:0xf bank_mask:0xf// 000000008740: 0A3434FA FF01568F
	v_mul_f32_dpp v27, v143, v27 row_newbcast:7 row_mask:0xf bank_mask:0xf// 000000008748: 0A3636FA FF01578F
	v_mul_f32_dpp v28, v143, v28 row_newbcast:8 row_mask:0xf bank_mask:0xf// 000000008750: 0A3838FA FF01588F
	v_mul_f32_dpp v29, v143, v29 row_newbcast:9 row_mask:0xf bank_mask:0xf// 000000008758: 0A3A3AFA FF01598F
	v_mul_f32_dpp v30, v143, v30 row_newbcast:10 row_mask:0xf bank_mask:0xf// 000000008760: 0A3C3CFA FF015A8F
	v_mul_f32_dpp v31, v143, v31 row_newbcast:11 row_mask:0xf bank_mask:0xf// 000000008768: 0A3E3EFA FF015B8F
	v_mul_f32_dpp v32, v143, v32 row_newbcast:12 row_mask:0xf bank_mask:0xf// 000000008770: 0A4040FA FF015C8F
	v_mul_f32_dpp v33, v143, v33 row_newbcast:13 row_mask:0xf bank_mask:0xf// 000000008778: 0A4242FA FF015D8F
	v_mul_f32_dpp v34, v143, v34 row_newbcast:14 row_mask:0xf bank_mask:0xf// 000000008780: 0A4444FA FF015E8F
	v_mul_f32_dpp v35, v143, v35 row_newbcast:15 row_mask:0xf bank_mask:0xf// 000000008788: 0A4646FA FF015F8F
	v_mul_f32_dpp v36, v143, v36 row_newbcast:0 row_mask:0xf bank_mask:0xf// 000000008790: 0A4848FA FF01508F
	v_mul_f32_dpp v37, v143, v37 row_newbcast:1 row_mask:0xf bank_mask:0xf// 000000008798: 0A4A4AFA FF01518F
	v_mul_f32_dpp v38, v143, v38 row_newbcast:2 row_mask:0xf bank_mask:0xf// 0000000087A0: 0A4C4CFA FF01528F
	v_mul_f32_dpp v39, v143, v39 row_newbcast:3 row_mask:0xf bank_mask:0xf// 0000000087A8: 0A4E4EFA FF01538F
	v_mul_f32_dpp v40, v143, v40 row_newbcast:4 row_mask:0xf bank_mask:0xf// 0000000087B0: 0A5050FA FF01548F
	v_mul_f32_dpp v41, v143, v41 row_newbcast:5 row_mask:0xf bank_mask:0xf// 0000000087B8: 0A5252FA FF01558F
	v_mul_f32_dpp v42, v143, v42 row_newbcast:6 row_mask:0xf bank_mask:0xf// 0000000087C0: 0A5454FA FF01568F
	v_mul_f32_dpp v43, v143, v43 row_newbcast:7 row_mask:0xf bank_mask:0xf// 0000000087C8: 0A5656FA FF01578F
	v_mul_f32_dpp v44, v143, v44 row_newbcast:8 row_mask:0xf bank_mask:0xf// 0000000087D0: 0A5858FA FF01588F
	v_mul_f32_dpp v45, v143, v45 row_newbcast:9 row_mask:0xf bank_mask:0xf// 0000000087D8: 0A5A5AFA FF01598F
	v_mul_f32_dpp v46, v143, v46 row_newbcast:10 row_mask:0xf bank_mask:0xf// 0000000087E0: 0A5C5CFA FF015A8F
	v_mul_f32_dpp v47, v143, v47 row_newbcast:11 row_mask:0xf bank_mask:0xf// 0000000087E8: 0A5E5EFA FF015B8F
	v_mul_f32_dpp v48, v143, v48 row_newbcast:12 row_mask:0xf bank_mask:0xf// 0000000087F0: 0A6060FA FF015C8F
	v_mul_f32_dpp v49, v143, v49 row_newbcast:13 row_mask:0xf bank_mask:0xf// 0000000087F8: 0A6262FA FF015D8F
	v_mul_f32_dpp v50, v143, v50 row_newbcast:14 row_mask:0xf bank_mask:0xf// 000000008800: 0A6464FA FF015E8F
	v_mul_f32_dpp v51, v143, v51 row_newbcast:15 row_mask:0xf bank_mask:0xf// 000000008808: 0A6666FA FF015F8F
	v_mul_f32_dpp v52, v143, v52 row_newbcast:0 row_mask:0xf bank_mask:0xf// 000000008810: 0A6868FA FF01508F
	v_mul_f32_dpp v53, v143, v53 row_newbcast:1 row_mask:0xf bank_mask:0xf// 000000008818: 0A6A6AFA FF01518F
	v_mul_f32_dpp v54, v143, v54 row_newbcast:2 row_mask:0xf bank_mask:0xf// 000000008820: 0A6C6CFA FF01528F
	v_mul_f32_dpp v55, v143, v55 row_newbcast:3 row_mask:0xf bank_mask:0xf// 000000008828: 0A6E6EFA FF01538F
	v_mul_f32_dpp v56, v143, v56 row_newbcast:4 row_mask:0xf bank_mask:0xf// 000000008830: 0A7070FA FF01548F
	v_mul_f32_dpp v57, v143, v57 row_newbcast:5 row_mask:0xf bank_mask:0xf// 000000008838: 0A7272FA FF01558F
	v_mul_f32_dpp v58, v143, v58 row_newbcast:6 row_mask:0xf bank_mask:0xf// 000000008840: 0A7474FA FF01568F
	v_mul_f32_dpp v59, v143, v59 row_newbcast:7 row_mask:0xf bank_mask:0xf// 000000008848: 0A7676FA FF01578F
	v_mul_f32_dpp v60, v143, v60 row_newbcast:8 row_mask:0xf bank_mask:0xf// 000000008850: 0A7878FA FF01588F
	v_mul_f32_dpp v61, v143, v61 row_newbcast:9 row_mask:0xf bank_mask:0xf// 000000008858: 0A7A7AFA FF01598F
	v_mul_f32_dpp v62, v143, v62 row_newbcast:10 row_mask:0xf bank_mask:0xf// 000000008860: 0A7C7CFA FF015A8F
	v_mul_f32_dpp v63, v143, v63 row_newbcast:11 row_mask:0xf bank_mask:0xf// 000000008868: 0A7E7EFA FF015B8F
	v_mul_f32_dpp v64, v143, v64 row_newbcast:12 row_mask:0xf bank_mask:0xf// 000000008870: 0A8080FA FF015C8F
	v_mul_f32_dpp v65, v143, v65 row_newbcast:13 row_mask:0xf bank_mask:0xf// 000000008878: 0A8282FA FF015D8F
	v_mul_f32_dpp v66, v143, v66 row_newbcast:14 row_mask:0xf bank_mask:0xf// 000000008880: 0A8484FA FF015E8F
	v_mul_f32_dpp v67, v143, v67 row_newbcast:15 row_mask:0xf bank_mask:0xf// 000000008888: 0A8686FA FF015F8F
	buffer_load_dword v140, v231, s[20:23], 0 offen            // 000000008890: E0501000 80058CE7
	s_waitcnt lgkmcnt(0)                                       // 000000008898: BF8CC07F
	s_barrier                                                  // 00000000889C: BF8A0000
	buffer_load_dword v142, v232, s[24:27], 0 offen            // 0000000088A0: E0501000 80068EE8
	s_waitcnt lgkmcnt(0)                                       // 0000000088A8: BF8CC07F
	v_sub_f32_e32 v176, v176, v152                             // 0000000088AC: 056131B0
	v_sub_f32_e32 v177, v177, v153                             // 0000000088B0: 056333B1
	v_sub_f32_e32 v178, v178, v154                             // 0000000088B4: 056535B2
	v_sub_f32_e32 v179, v179, v155                             // 0000000088B8: 056737B3
	v_mul_f32_e32 v176, s46, v176                              // 0000000088BC: 0B61602E
	v_mul_f32_e32 v177, s46, v177                              // 0000000088C0: 0B63622E
	v_mul_f32_e32 v178, s46, v178                              // 0000000088C4: 0B65642E
	v_mul_f32_e32 v179, s46, v179                              // 0000000088C8: 0B67662E
	v_exp_f32_e32 v176, v176                                   // 0000000088CC: 7F6041B0
	v_exp_f32_e32 v177, v177                                   // 0000000088D0: 7F6241B1
	v_exp_f32_e32 v178, v178                                   // 0000000088D4: 7F6441B2
	v_exp_f32_e32 v179, v179                                   // 0000000088D8: 7F6641B3
	v_mul_f32_e32 v176, v143, v176                             // 0000000088DC: 0B61618F
	v_mul_f32_e32 v177, v143, v177                             // 0000000088E0: 0B63638F
	v_mul_f32_e32 v178, v143, v178                             // 0000000088E4: 0B65658F
	v_mul_f32_e32 v179, v143, v179                             // 0000000088E8: 0B67678F
	v_add_f32_e32 v176, 0x3089705f, v176                       // 0000000088EC: 036160FF 3089705F
	v_add_f32_e32 v177, 0x3089705f, v177                       // 0000000088F4: 036362FF 3089705F
	v_add_f32_e32 v178, 0x3089705f, v178                       // 0000000088FC: 036564FF 3089705F
	v_add_f32_e32 v179, 0x3089705f, v179                       // 000000008904: 036766FF 3089705F
	v_rcp_f32_e32 v176, v176                                   // 00000000890C: 7F6045B0
	v_rcp_f32_e32 v177, v177                                   // 000000008910: 7F6245B1
	v_rcp_f32_e32 v178, v178                                   // 000000008914: 7F6445B2
	v_rcp_f32_e32 v179, v179                                   // 000000008918: 7F6645B3
	v_mul_f32_e32 v176, 0x43700000, v176                       // 00000000891C: 0B6160FF 43700000
	v_mul_f32_e32 v177, 0x43700000, v177                       // 000000008924: 0B6362FF 43700000
	v_mul_f32_e32 v178, 0x43700000, v178                       // 00000000892C: 0B6564FF 43700000
	v_mul_f32_e32 v179, 0x43700000, v179                       // 000000008934: 0B6766FF 43700000
	v_mul_f32_e32 v4, v176, v4                                 // 00000000893C: 0A0809B0
	v_mul_f32_e32 v5, v176, v5                                 // 000000008940: 0A0A0BB0
	v_mul_f32_e32 v6, v176, v6                                 // 000000008944: 0A0C0DB0
	v_mul_f32_e32 v7, v176, v7                                 // 000000008948: 0A0E0FB0
	v_mul_f32_e32 v8, v176, v8                                 // 00000000894C: 0A1011B0
	v_mul_f32_e32 v9, v176, v9                                 // 000000008950: 0A1213B0
	v_mul_f32_e32 v10, v176, v10                               // 000000008954: 0A1415B0
	v_mul_f32_e32 v11, v176, v11                               // 000000008958: 0A1617B0
	v_mul_f32_e32 v12, v176, v12                               // 00000000895C: 0A1819B0
	v_mul_f32_e32 v13, v176, v13                               // 000000008960: 0A1A1BB0
	v_mul_f32_e32 v14, v176, v14                               // 000000008964: 0A1C1DB0
	v_mul_f32_e32 v15, v176, v15                               // 000000008968: 0A1E1FB0
	v_mul_f32_e32 v16, v176, v16                               // 00000000896C: 0A2021B0
	v_mul_f32_e32 v17, v176, v17                               // 000000008970: 0A2223B0
	v_mul_f32_e32 v18, v176, v18                               // 000000008974: 0A2425B0
	v_mul_f32_e32 v19, v176, v19                               // 000000008978: 0A2627B0
	v_mul_f32_e32 v20, v177, v20                               // 00000000897C: 0A2829B1
	v_mul_f32_e32 v21, v177, v21                               // 000000008980: 0A2A2BB1
	v_mul_f32_e32 v22, v177, v22                               // 000000008984: 0A2C2DB1
	v_mul_f32_e32 v23, v177, v23                               // 000000008988: 0A2E2FB1
	v_mul_f32_e32 v24, v177, v24                               // 00000000898C: 0A3031B1
	v_mul_f32_e32 v25, v177, v25                               // 000000008990: 0A3233B1
	v_mul_f32_e32 v26, v177, v26                               // 000000008994: 0A3435B1
	v_mul_f32_e32 v27, v177, v27                               // 000000008998: 0A3637B1
	v_mul_f32_e32 v28, v177, v28                               // 00000000899C: 0A3839B1
	v_mul_f32_e32 v29, v177, v29                               // 0000000089A0: 0A3A3BB1
	v_mul_f32_e32 v30, v177, v30                               // 0000000089A4: 0A3C3DB1
	v_mul_f32_e32 v31, v177, v31                               // 0000000089A8: 0A3E3FB1
	v_mul_f32_e32 v32, v177, v32                               // 0000000089AC: 0A4041B1
	v_mul_f32_e32 v33, v177, v33                               // 0000000089B0: 0A4243B1
	v_mul_f32_e32 v34, v177, v34                               // 0000000089B4: 0A4445B1
	v_mul_f32_e32 v35, v177, v35                               // 0000000089B8: 0A4647B1
	v_mul_f32_e32 v36, v178, v36                               // 0000000089BC: 0A4849B2
	v_mul_f32_e32 v37, v178, v37                               // 0000000089C0: 0A4A4BB2
	v_mul_f32_e32 v38, v178, v38                               // 0000000089C4: 0A4C4DB2
	v_mul_f32_e32 v39, v178, v39                               // 0000000089C8: 0A4E4FB2
	v_mul_f32_e32 v40, v178, v40                               // 0000000089CC: 0A5051B2
	v_mul_f32_e32 v41, v178, v41                               // 0000000089D0: 0A5253B2
	v_mul_f32_e32 v42, v178, v42                               // 0000000089D4: 0A5455B2
	v_mul_f32_e32 v43, v178, v43                               // 0000000089D8: 0A5657B2
	v_mul_f32_e32 v44, v178, v44                               // 0000000089DC: 0A5859B2
	v_mul_f32_e32 v45, v178, v45                               // 0000000089E0: 0A5A5BB2
	v_mul_f32_e32 v46, v178, v46                               // 0000000089E4: 0A5C5DB2
	v_mul_f32_e32 v47, v178, v47                               // 0000000089E8: 0A5E5FB2
	v_mul_f32_e32 v48, v178, v48                               // 0000000089EC: 0A6061B2
	v_mul_f32_e32 v49, v178, v49                               // 0000000089F0: 0A6263B2
	v_mul_f32_e32 v50, v178, v50                               // 0000000089F4: 0A6465B2
	v_mul_f32_e32 v51, v178, v51                               // 0000000089F8: 0A6667B2
	v_mul_f32_e32 v52, v179, v52                               // 0000000089FC: 0A6869B3
	v_mul_f32_e32 v53, v179, v53                               // 000000008A00: 0A6A6BB3
	v_mul_f32_e32 v54, v179, v54                               // 000000008A04: 0A6C6DB3
	v_mul_f32_e32 v55, v179, v55                               // 000000008A08: 0A6E6FB3
	v_mul_f32_e32 v56, v179, v56                               // 000000008A0C: 0A7071B3
	v_mul_f32_e32 v57, v179, v57                               // 000000008A10: 0A7273B3
	v_mul_f32_e32 v58, v179, v58                               // 000000008A14: 0A7475B3
	v_mul_f32_e32 v59, v179, v59                               // 000000008A18: 0A7677B3
	v_mul_f32_e32 v60, v179, v60                               // 000000008A1C: 0A7879B3
	v_mul_f32_e32 v61, v179, v61                               // 000000008A20: 0A7A7BB3
	v_mul_f32_e32 v62, v179, v62                               // 000000008A24: 0A7C7DB3
	v_mul_f32_e32 v63, v179, v63                               // 000000008A28: 0A7E7FB3
	v_mul_f32_e32 v64, v179, v64                               // 000000008A2C: 0A8081B3
	v_mul_f32_e32 v65, v179, v65                               // 000000008A30: 0A8283B3
	v_mul_f32_e32 v66, v179, v66                               // 000000008A34: 0A8485B3
	v_mul_f32_e32 v67, v179, v67                               // 000000008A38: 0A8687B3
	v_cvt_pk_fp8_f32 v4, v4, v5                                // 000000008A3C: D2A20004 00020B04
	v_cvt_pk_fp8_f32 v4, v6, v7 op_sel:[0,0,1]                 // 000000008A44: D2A24004 00020F06
	v_cvt_pk_fp8_f32 v5, v8, v9                                // 000000008A4C: D2A20005 00021308
	v_cvt_pk_fp8_f32 v5, v10, v11 op_sel:[0,0,1]               // 000000008A54: D2A24005 0002170A
	v_cvt_pk_fp8_f32 v6, v12, v13                              // 000000008A5C: D2A20006 00021B0C
	v_cvt_pk_fp8_f32 v6, v14, v15 op_sel:[0,0,1]               // 000000008A64: D2A24006 00021F0E
	v_cvt_pk_fp8_f32 v7, v16, v17                              // 000000008A6C: D2A20007 00022310
	v_cvt_pk_fp8_f32 v7, v18, v19 op_sel:[0,0,1]               // 000000008A74: D2A24007 00022712
	v_cvt_pk_fp8_f32 v8, v20, v21                              // 000000008A7C: D2A20008 00022B14
	v_cvt_pk_fp8_f32 v8, v22, v23 op_sel:[0,0,1]               // 000000008A84: D2A24008 00022F16
	v_cvt_pk_fp8_f32 v9, v24, v25                              // 000000008A8C: D2A20009 00023318
	v_cvt_pk_fp8_f32 v9, v26, v27 op_sel:[0,0,1]               // 000000008A94: D2A24009 0002371A
	v_cvt_pk_fp8_f32 v10, v28, v29                             // 000000008A9C: D2A2000A 00023B1C
	v_cvt_pk_fp8_f32 v10, v30, v31 op_sel:[0,0,1]              // 000000008AA4: D2A2400A 00023F1E
	v_cvt_pk_fp8_f32 v11, v32, v33                             // 000000008AAC: D2A2000B 00024320
	v_cvt_pk_fp8_f32 v11, v34, v35 op_sel:[0,0,1]              // 000000008AB4: D2A2400B 00024722
	v_cvt_pk_fp8_f32 v12, v36, v37                             // 000000008ABC: D2A2000C 00024B24
	v_cvt_pk_fp8_f32 v12, v38, v39 op_sel:[0,0,1]              // 000000008AC4: D2A2400C 00024F26
	v_cvt_pk_fp8_f32 v13, v40, v41                             // 000000008ACC: D2A2000D 00025328
	v_cvt_pk_fp8_f32 v13, v42, v43 op_sel:[0,0,1]              // 000000008AD4: D2A2400D 0002572A
	v_cvt_pk_fp8_f32 v14, v44, v45                             // 000000008ADC: D2A2000E 00025B2C
	v_cvt_pk_fp8_f32 v14, v46, v47 op_sel:[0,0,1]              // 000000008AE4: D2A2400E 00025F2E
	v_cvt_pk_fp8_f32 v15, v48, v49                             // 000000008AEC: D2A2000F 00026330
	v_cvt_pk_fp8_f32 v15, v50, v51 op_sel:[0,0,1]              // 000000008AF4: D2A2400F 00026732
	v_cvt_pk_fp8_f32 v16, v52, v53                             // 000000008AFC: D2A20010 00026B34
	v_cvt_pk_fp8_f32 v16, v54, v55 op_sel:[0,0,1]              // 000000008B04: D2A24010 00026F36
	v_cvt_pk_fp8_f32 v17, v56, v57                             // 000000008B0C: D2A20011 00027338
	v_cvt_pk_fp8_f32 v17, v58, v59 op_sel:[0,0,1]              // 000000008B14: D2A24011 0002773A
	v_cvt_pk_fp8_f32 v18, v60, v61                             // 000000008B1C: D2A20012 00027B3C
	v_cvt_pk_fp8_f32 v18, v62, v63 op_sel:[0,0,1]              // 000000008B24: D2A24012 00027F3E
	v_cvt_pk_fp8_f32 v19, v64, v65                             // 000000008B2C: D2A20013 00028340
	v_cvt_pk_fp8_f32 v19, v66, v67 op_sel:[0,0,1]              // 000000008B34: D2A24013 00028742
	ds_write_b32 v249, v4 offset:8192                          // 000000008B3C: D81A2000 000004F9
	ds_write_b32 v249, v5 offset:9216                          // 000000008B44: D81A2400 000005F9
	ds_write_b32 v249, v6 offset:10240                         // 000000008B4C: D81A2800 000006F9
	ds_write_b32 v249, v7 offset:11264                         // 000000008B54: D81A2C00 000007F9
	ds_write_b32 v249, v8 offset:12288                         // 000000008B5C: D81A3000 000008F9
	ds_write_b32 v249, v9 offset:13312                         // 000000008B64: D81A3400 000009F9
	ds_write_b32 v249, v10 offset:14336                        // 000000008B6C: D81A3800 00000AF9
	ds_write_b32 v249, v11 offset:15360                        // 000000008B74: D81A3C00 00000BF9
	ds_write_b32 v249, v12 offset:16384                        // 000000008B7C: D81A4000 00000CF9
	ds_write_b32 v249, v13 offset:17408                        // 000000008B84: D81A4400 00000DF9
	ds_write_b32 v249, v14 offset:18432                        // 000000008B8C: D81A4800 00000EF9
	ds_write_b32 v249, v15 offset:19456                        // 000000008B94: D81A4C00 00000FF9
	ds_write_b32 v249, v16 offset:20480                        // 000000008B9C: D81A5000 000010F9
	ds_write_b32 v249, v17 offset:21504                        // 000000008BA4: D81A5400 000011F9
	ds_write_b32 v249, v18 offset:22528                        // 000000008BAC: D81A5800 000012F9
	ds_write_b32 v249, v19 offset:23552                        // 000000008BB4: D81A5C00 000013F9
	v_rcp_f32_e32 v144, v176                                   // 000000008BBC: 7F2045B0
	v_rcp_f32_e32 v146, v177                                   // 000000008BC0: 7F2445B1
	v_rcp_f32_e32 v148, v178                                   // 000000008BC4: 7F2845B2
	v_rcp_f32_e32 v150, v179                                   // 000000008BC8: 7F2C45B3
	v_mov_b32_e32 v145, v144                                   // 000000008BCC: 7F220390
	v_mov_b32_e32 v147, v146                                   // 000000008BD0: 7F260392
	v_mov_b32_e32 v149, v148                                   // 000000008BD4: 7F2A0394
	v_mov_b32_e32 v151, v150                                   // 000000008BD8: 7F2E0396
	v_pk_add_f32 v[100:101], v[100:101], v[68:69]              // 000000008BDC: D3B24064 18028964
	v_pk_add_f32 v[102:103], v[102:103], v[70:71]              // 000000008BE4: D3B24066 18028D66
	v_pk_add_f32 v[104:105], v[104:105], v[72:73]              // 000000008BEC: D3B24068 18029168
	v_pk_add_f32 v[106:107], v[106:107], v[74:75]              // 000000008BF4: D3B2406A 1802956A
	v_pk_add_f32 v[108:109], v[108:109], v[76:77]              // 000000008BFC: D3B2406C 1802996C
	v_pk_add_f32 v[110:111], v[110:111], v[78:79]              // 000000008C04: D3B2406E 18029D6E
	v_pk_add_f32 v[112:113], v[112:113], v[80:81]              // 000000008C0C: D3B24070 1802A170
	v_pk_add_f32 v[114:115], v[114:115], v[82:83]              // 000000008C14: D3B24072 1802A572
	v_pk_add_f32 v[116:117], v[116:117], v[84:85]              // 000000008C1C: D3B24074 1802A974
	v_pk_add_f32 v[118:119], v[118:119], v[86:87]              // 000000008C24: D3B24076 1802AD76
	v_pk_add_f32 v[120:121], v[120:121], v[88:89]              // 000000008C2C: D3B24078 1802B178
	v_pk_add_f32 v[122:123], v[122:123], v[90:91]              // 000000008C34: D3B2407A 1802B57A
	v_pk_add_f32 v[124:125], v[124:125], v[92:93]              // 000000008C3C: D3B2407C 1802B97C
	v_pk_add_f32 v[126:127], v[126:127], v[94:95]              // 000000008C44: D3B2407E 1802BD7E
	v_pk_add_f32 v[128:129], v[128:129], v[96:97]              // 000000008C4C: D3B24080 1802C180
	v_pk_add_f32 v[130:131], v[130:131], v[98:99]              // 000000008C54: D3B24082 1802C582
	s_waitcnt lgkmcnt(0)                                       // 000000008C5C: BF8CC07F
	s_barrier                                                  // 000000008C60: BF8A0000
	ds_read_b128 v[4:7], v250 offset:8192                      // 000000008C64: D9FE2000 040000FA
	ds_read_b128 v[8:11], v250 offset:9216                     // 000000008C6C: D9FE2400 080000FA
	ds_read_b128 v[12:15], v250 offset:10240                   // 000000008C74: D9FE2800 0C0000FA
	ds_read_b128 v[16:19], v250 offset:11264                   // 000000008C7C: D9FE2C00 100000FA
	ds_read_b128 v[20:23], v250 offset:12288                   // 000000008C84: D9FE3000 140000FA
	ds_read_b128 v[24:27], v250 offset:13312                   // 000000008C8C: D9FE3400 180000FA
	ds_read_b128 v[28:31], v250 offset:14336                   // 000000008C94: D9FE3800 1C0000FA
	ds_read_b128 v[32:35], v250 offset:15360                   // 000000008C9C: D9FE3C00 200000FA
	ds_read_b128 v[36:39], v250 offset:16384                   // 000000008CA4: D9FE4000 240000FA
	ds_read_b128 v[40:43], v250 offset:17408                   // 000000008CAC: D9FE4400 280000FA
	ds_read_b128 v[44:47], v250 offset:18432                   // 000000008CB4: D9FE4800 2C0000FA
	ds_read_b128 v[48:51], v250 offset:19456                   // 000000008CBC: D9FE4C00 300000FA
	ds_read_b128 v[52:55], v250 offset:20480                   // 000000008CC4: D9FE5000 340000FA
	ds_read_b128 v[56:59], v250 offset:21504                   // 000000008CCC: D9FE5400 380000FA
	ds_read_b128 v[60:63], v250 offset:22528                   // 000000008CD4: D9FE5800 3C0000FA
	ds_read_b128 v[64:67], v250 offset:23552                   // 000000008CDC: D9FE5C00 400000FA
	s_waitcnt vmcnt(10)                                        // 000000008CE4: BF8C0F7A
	s_waitcnt vmcnt(63) expcnt(7) lgkmcnt(15)                  // 000000008CE8: BF8CCF7F
	v_mfma_f32_16x16x32_fp8_fp8 v[68:71], a[128:129], v[4:5], 0// 000000008CEC: D3F30044 0A020980
	v_mfma_f32_16x16x32_fp8_fp8 v[72:75], a[144:145], v[4:5], 0// 000000008CF4: D3F30048 0A020990
	v_mfma_f32_16x16x32_fp8_fp8 v[68:71], a[130:131], v[6:7], v[68:71]// 000000008CFC: D3F30044 0D120D82
	buffer_load_dwordx4 a[96:99], v227, s[16:19], 0 offen      // 000000008D04: E05C1000 808460E3
	v_mfma_f32_16x16x32_fp8_fp8 v[72:75], a[146:147], v[6:7], v[72:75]// 000000008D0C: D3F30048 0D220D92
	s_waitcnt lgkmcnt(14)                                      // 000000008D14: BF8CCE7F
	v_mfma_f32_16x16x32_fp8_fp8 v[68:71], a[132:133], v[8:9], v[68:71]// 000000008D18: D3F30044 0D121184
	v_mfma_f32_16x16x32_fp8_fp8 v[72:75], a[148:149], v[8:9], v[72:75]// 000000008D20: D3F30048 0D221194
	v_mfma_f32_16x16x32_fp8_fp8 v[68:71], a[134:135], v[10:11], v[68:71]// 000000008D28: D3F30044 0D121586
	buffer_load_dwordx4 a[100:103], v228, s[16:19], 0 offen    // 000000008D30: E05C1000 808464E4
	v_mfma_f32_16x16x32_fp8_fp8 v[72:75], a[150:151], v[10:11], v[72:75]// 000000008D38: D3F30048 0D221596
	s_waitcnt lgkmcnt(13)                                      // 000000008D40: BF8CCD7F
	v_mfma_f32_16x16x32_fp8_fp8 v[68:71], a[136:137], v[12:13], v[68:71]// 000000008D44: D3F30044 0D121988
	v_mfma_f32_16x16x32_fp8_fp8 v[72:75], a[152:153], v[12:13], v[72:75]// 000000008D4C: D3F30048 0D221998
	v_mfma_f32_16x16x32_fp8_fp8 v[68:71], a[138:139], v[14:15], v[68:71]// 000000008D54: D3F30044 0D121D8A
	buffer_load_dwordx4 a[104:107], v229, s[16:19], 0 offen    // 000000008D5C: E05C1000 808468E5
	v_mfma_f32_16x16x32_fp8_fp8 v[72:75], a[154:155], v[14:15], v[72:75]// 000000008D64: D3F30048 0D221D9A
	s_waitcnt lgkmcnt(12)                                      // 000000008D6C: BF8CCC7F
	v_mfma_f32_16x16x32_fp8_fp8 v[68:71], a[140:141], v[16:17], v[68:71]// 000000008D70: D3F30044 0D12218C
	v_mfma_f32_16x16x32_fp8_fp8 v[72:75], a[156:157], v[16:17], v[72:75]// 000000008D78: D3F30048 0D22219C
	v_mfma_f32_16x16x32_fp8_fp8 v[68:71], a[142:143], v[18:19], v[68:71]// 000000008D80: D3F30044 0D12258E
	buffer_load_dwordx4 a[108:111], v230, s[16:19], 0 offen    // 000000008D88: E05C1000 80846CE6
	v_mfma_f32_16x16x32_fp8_fp8 v[72:75], a[158:159], v[18:19], v[72:75]// 000000008D90: D3F30048 0D22259E
	s_waitcnt lgkmcnt(11)                                      // 000000008D98: BF8CCB7F
	v_mfma_f32_16x16x32_fp8_fp8 v[76:79], a[128:129], v[20:21], 0// 000000008D9C: D3F3004C 0A022980
	v_mfma_f32_16x16x32_fp8_fp8 v[80:83], a[144:145], v[20:21], 0// 000000008DA4: D3F30050 0A022990
	v_mfma_f32_16x16x32_fp8_fp8 v[76:79], a[130:131], v[22:23], v[76:79]// 000000008DAC: D3F3004C 0D322D82
	buffer_load_dwordx4 a[112:115], v227, s[16:19], 0 offen offset:1024// 000000008DB4: E05C1400 808470E3
	v_mfma_f32_16x16x32_fp8_fp8 v[80:83], a[146:147], v[22:23], v[80:83]// 000000008DBC: D3F30050 0D422D92
	s_waitcnt lgkmcnt(10)                                      // 000000008DC4: BF8CCA7F
	v_mfma_f32_16x16x32_fp8_fp8 v[76:79], a[132:133], v[24:25], v[76:79]// 000000008DC8: D3F3004C 0D323184
	v_mfma_f32_16x16x32_fp8_fp8 v[80:83], a[148:149], v[24:25], v[80:83]// 000000008DD0: D3F30050 0D423194
	v_mfma_f32_16x16x32_fp8_fp8 v[76:79], a[134:135], v[26:27], v[76:79]// 000000008DD8: D3F3004C 0D323586
	buffer_load_dwordx4 a[116:119], v228, s[16:19], 0 offen offset:1024// 000000008DE0: E05C1400 808474E4
	v_mfma_f32_16x16x32_fp8_fp8 v[80:83], a[150:151], v[26:27], v[80:83]// 000000008DE8: D3F30050 0D423596
	s_waitcnt lgkmcnt(9)                                       // 000000008DF0: BF8CC97F
	v_mfma_f32_16x16x32_fp8_fp8 v[76:79], a[136:137], v[28:29], v[76:79]// 000000008DF4: D3F3004C 0D323988
	v_mfma_f32_16x16x32_fp8_fp8 v[80:83], a[152:153], v[28:29], v[80:83]// 000000008DFC: D3F30050 0D423998
	v_mfma_f32_16x16x32_fp8_fp8 v[76:79], a[138:139], v[30:31], v[76:79]// 000000008E04: D3F3004C 0D323D8A
	buffer_load_dwordx4 a[120:123], v229, s[16:19], 0 offen offset:1024// 000000008E0C: E05C1400 808478E5
	v_mfma_f32_16x16x32_fp8_fp8 v[80:83], a[154:155], v[30:31], v[80:83]// 000000008E14: D3F30050 0D423D9A
	s_waitcnt lgkmcnt(8)                                       // 000000008E1C: BF8CC87F
	v_mfma_f32_16x16x32_fp8_fp8 v[76:79], a[140:141], v[32:33], v[76:79]// 000000008E20: D3F3004C 0D32418C
	v_mfma_f32_16x16x32_fp8_fp8 v[80:83], a[156:157], v[32:33], v[80:83]// 000000008E28: D3F30050 0D42419C
	v_mfma_f32_16x16x32_fp8_fp8 v[76:79], a[142:143], v[34:35], v[76:79]// 000000008E30: D3F3004C 0D32458E
	buffer_load_dwordx4 a[124:127], v230, s[16:19], 0 offen offset:1024// 000000008E38: E05C1400 80847CE6
	v_mfma_f32_16x16x32_fp8_fp8 v[80:83], a[158:159], v[34:35], v[80:83]// 000000008E40: D3F30050 0D42459E
	s_waitcnt lgkmcnt(7)                                       // 000000008E48: BF8CC77F
	v_mfma_f32_16x16x32_fp8_fp8 v[84:87], a[128:129], v[36:37], 0// 000000008E4C: D3F30054 0A024980
	v_mfma_f32_16x16x32_fp8_fp8 v[88:91], a[144:145], v[36:37], 0// 000000008E54: D3F30058 0A024990
	v_mfma_f32_16x16x32_fp8_fp8 v[84:87], a[130:131], v[38:39], v[84:87]// 000000008E5C: D3F30054 0D524D82
	v_mfma_f32_16x16x32_fp8_fp8 v[88:91], a[146:147], v[38:39], v[88:91]// 000000008E64: D3F30058 0D624D92
	s_waitcnt lgkmcnt(6)                                       // 000000008E6C: BF8CC67F
	v_mfma_f32_16x16x32_fp8_fp8 v[84:87], a[132:133], v[40:41], v[84:87]// 000000008E70: D3F30054 0D525184
	v_mfma_f32_16x16x32_fp8_fp8 v[88:91], a[148:149], v[40:41], v[88:91]// 000000008E78: D3F30058 0D625194
	v_mfma_f32_16x16x32_fp8_fp8 v[84:87], a[134:135], v[42:43], v[84:87]// 000000008E80: D3F30054 0D525586
	v_mfma_f32_16x16x32_fp8_fp8 v[88:91], a[150:151], v[42:43], v[88:91]// 000000008E88: D3F30058 0D625596
	s_waitcnt lgkmcnt(5)                                       // 000000008E90: BF8CC57F
	v_mfma_f32_16x16x32_fp8_fp8 v[84:87], a[136:137], v[44:45], v[84:87]// 000000008E94: D3F30054 0D525988
	v_mfma_f32_16x16x32_fp8_fp8 v[88:91], a[152:153], v[44:45], v[88:91]// 000000008E9C: D3F30058 0D625998
	v_mfma_f32_16x16x32_fp8_fp8 v[84:87], a[138:139], v[46:47], v[84:87]// 000000008EA4: D3F30054 0D525D8A
	v_mfma_f32_16x16x32_fp8_fp8 v[88:91], a[154:155], v[46:47], v[88:91]// 000000008EAC: D3F30058 0D625D9A
	s_waitcnt lgkmcnt(4)                                       // 000000008EB4: BF8CC47F
	v_mfma_f32_16x16x32_fp8_fp8 v[84:87], a[140:141], v[48:49], v[84:87]// 000000008EB8: D3F30054 0D52618C
	v_mfma_f32_16x16x32_fp8_fp8 v[88:91], a[156:157], v[48:49], v[88:91]// 000000008EC0: D3F30058 0D62619C
	v_mfma_f32_16x16x32_fp8_fp8 v[84:87], a[142:143], v[50:51], v[84:87]// 000000008EC8: D3F30054 0D52658E
	v_mfma_f32_16x16x32_fp8_fp8 v[88:91], a[158:159], v[50:51], v[88:91]// 000000008ED0: D3F30058 0D62659E
	s_waitcnt lgkmcnt(3)                                       // 000000008ED8: BF8CC37F
	v_mfma_f32_16x16x32_fp8_fp8 v[92:95], a[128:129], v[52:53], 0// 000000008EDC: D3F3005C 0A026980
	v_mfma_f32_16x16x32_fp8_fp8 v[96:99], a[144:145], v[52:53], 0// 000000008EE4: D3F30060 0A026990
	v_mfma_f32_16x16x32_fp8_fp8 v[92:95], a[130:131], v[54:55], v[92:95]// 000000008EEC: D3F3005C 0D726D82
	v_mfma_f32_16x16x32_fp8_fp8 v[96:99], a[146:147], v[54:55], v[96:99]// 000000008EF4: D3F30060 0D826D92
	s_waitcnt lgkmcnt(2)                                       // 000000008EFC: BF8CC27F
	v_mfma_f32_16x16x32_fp8_fp8 v[92:95], a[132:133], v[56:57], v[92:95]// 000000008F00: D3F3005C 0D727184
	v_mfma_f32_16x16x32_fp8_fp8 v[96:99], a[148:149], v[56:57], v[96:99]// 000000008F08: D3F30060 0D827194
	v_mfma_f32_16x16x32_fp8_fp8 v[92:95], a[134:135], v[58:59], v[92:95]// 000000008F10: D3F3005C 0D727586
	v_mfma_f32_16x16x32_fp8_fp8 v[96:99], a[150:151], v[58:59], v[96:99]// 000000008F18: D3F30060 0D827596
	s_waitcnt lgkmcnt(1)                                       // 000000008F20: BF8CC17F
	v_mfma_f32_16x16x32_fp8_fp8 v[92:95], a[136:137], v[60:61], v[92:95]// 000000008F24: D3F3005C 0D727988
	v_mfma_f32_16x16x32_fp8_fp8 v[96:99], a[152:153], v[60:61], v[96:99]// 000000008F2C: D3F30060 0D827998
	v_mfma_f32_16x16x32_fp8_fp8 v[92:95], a[138:139], v[62:63], v[92:95]// 000000008F34: D3F3005C 0D727D8A
	v_mfma_f32_16x16x32_fp8_fp8 v[96:99], a[154:155], v[62:63], v[96:99]// 000000008F3C: D3F30060 0D827D9A
	s_waitcnt lgkmcnt(0)                                       // 000000008F44: BF8CC07F
	v_mfma_f32_16x16x32_fp8_fp8 v[92:95], a[140:141], v[64:65], v[92:95]// 000000008F48: D3F3005C 0D72818C
	v_mfma_f32_16x16x32_fp8_fp8 v[96:99], a[156:157], v[64:65], v[96:99]// 000000008F50: D3F30060 0D82819C
	v_mfma_f32_16x16x32_fp8_fp8 v[92:95], a[142:143], v[66:67], v[92:95]// 000000008F58: D3F3005C 0D72858E
	v_mfma_f32_16x16x32_fp8_fp8 v[96:99], a[158:159], v[66:67], v[96:99]// 000000008F60: D3F30060 0D82859E
	s_addk_i32 s64, 0x100                                      // 000000008F68: B7400100
	s_branch label_04D2                                        // 000000008F6C: BF82EA76

0000000000008f70 <label_1A5C>:
	s_cmp_lt_i32 s64, s63                                      // 000000008F70: BF043F40
	s_cbranch_scc0 label_2FE6                                  // 000000008F74: BF841588
	s_waitcnt vmcnt(10)                                        // 000000008F78: BF8C0F7A
	v_mfma_f32_16x16x32_fp8_fp8 v[4:7], a[32:33], a[0:1], 0    // 000000008F7C: D3F30004 1A020120
	s_add_u32 s12, s86, s69                                    // 000000008F84: 800C4556
	s_addc_u32 s13, s87, 0                                     // 000000008F88: 820D8057
	v_mfma_f32_16x16x32_fp8_fp8 v[4:7], a[34:35], a[2:3], v[4:7]// 000000008F8C: D3F30004 1C120522
	s_add_u32 s16, s88, s70                                    // 000000008F94: 80104658
	s_addc_u32 s17, s89, 0                                     // 000000008F98: 82118059
	v_mfma_f32_16x16x32_fp8_fp8 v[4:7], a[36:37], a[4:5], v[4:7]// 000000008F9C: D3F30004 1C120924
	buffer_load_dwordx4 a[64:67], v225, s[12:15], 0 offen      // 000000008FA4: E05C1000 808340E1
	v_mfma_f32_16x16x32_fp8_fp8 v[4:7], a[38:39], a[6:7], v[4:7]// 000000008FAC: D3F30004 1C120D26
	s_add_u32 s20, s90, s71                                    // 000000008FB4: 8014475A
	s_addc_u32 s21, s91, 0                                     // 000000008FB8: 8215805B
	v_mfma_f32_16x16x32_fp8_fp8 v[8:11], a[40:41], a[0:1], 0   // 000000008FBC: D3F30008 1A020128
	s_add_u32 s24, s92, s71                                    // 000000008FC4: 8018475C
	s_addc_u32 s25, s93, 0                                     // 000000008FC8: 8219805D
	v_mfma_f32_16x16x32_fp8_fp8 v[8:11], a[42:43], a[2:3], v[8:11]// 000000008FCC: D3F30008 1C22052A
	s_add_u32 s69, s69, 0x1000                                 // 000000008FD4: 8045FF45 00001000
	s_add_u32 s70, s70, 0x8000                                 // 000000008FDC: 8046FF46 00008000
	v_mfma_f32_16x16x32_fp8_fp8 v[8:11], a[44:45], a[4:5], v[8:11]// 000000008FE4: D3F30008 1C22092C
	buffer_load_dwordx4 a[68:71], v226, s[12:15], 0 offen      // 000000008FEC: E05C1000 808344E2
	v_mfma_f32_16x16x32_fp8_fp8 v[8:11], a[46:47], a[6:7], v[8:11]// 000000008FF4: D3F30008 1C220D2E
	v_mfma_f32_16x16x32_fp8_fp8 v[12:15], a[48:49], a[0:1], 0  // 000000008FFC: D3F3000C 1A020130
	v_mfma_f32_16x16x32_fp8_fp8 v[12:15], a[50:51], a[2:3], v[12:15]// 000000009004: D3F3000C 1C320532
	v_mfma_f32_16x16x32_fp8_fp8 v[12:15], a[52:53], a[4:5], v[12:15]// 00000000900C: D3F3000C 1C320934
	buffer_load_dwordx4 a[72:75], v225, s[12:15], 0 offen offset:1024// 000000009014: E05C1400 808348E1
	v_mfma_f32_16x16x32_fp8_fp8 v[12:15], a[54:55], a[6:7], v[12:15]// 00000000901C: D3F3000C 1C320D36
	v_mfma_f32_16x16x32_fp8_fp8 v[16:19], a[56:57], a[0:1], 0  // 000000009024: D3F30010 1A020138
	v_mfma_f32_16x16x32_fp8_fp8 v[16:19], a[58:59], a[2:3], v[16:19]// 00000000902C: D3F30010 1C42053A
	v_mfma_f32_16x16x32_fp8_fp8 v[16:19], a[60:61], a[4:5], v[16:19]// 000000009034: D3F30010 1C42093C
	buffer_load_dwordx4 a[76:79], v226, s[12:15], 0 offen offset:1024// 00000000903C: E05C1400 80834CE2
	v_mfma_f32_16x16x32_fp8_fp8 v[16:19], a[62:63], a[6:7], v[16:19]// 000000009044: D3F30010 1C420D3E
	v_mfma_f32_16x16x32_fp8_fp8 v[20:23], a[32:33], a[8:9], 0  // 00000000904C: D3F30014 1A021120
	v_mfma_f32_16x16x32_fp8_fp8 v[20:23], a[34:35], a[10:11], v[20:23]// 000000009054: D3F30014 1C521522
	v_mfma_f32_16x16x32_fp8_fp8 v[20:23], a[36:37], a[12:13], v[20:23]// 00000000905C: D3F30014 1C521924
	buffer_load_dwordx4 a[80:83], v225, s[12:15], 0 offen offset:2048// 000000009064: E05C1800 808350E1
	v_mfma_f32_16x16x32_fp8_fp8 v[20:23], a[38:39], a[14:15], v[20:23]// 00000000906C: D3F30014 1C521D26
	v_mfma_f32_16x16x32_fp8_fp8 v[24:27], a[40:41], a[8:9], 0  // 000000009074: D3F30018 1A021128
	v_mfma_f32_16x16x32_fp8_fp8 v[24:27], a[42:43], a[10:11], v[24:27]// 00000000907C: D3F30018 1C62152A
	v_mfma_f32_16x16x32_fp8_fp8 v[24:27], a[44:45], a[12:13], v[24:27]// 000000009084: D3F30018 1C62192C
	buffer_load_dwordx4 a[84:87], v226, s[12:15], 0 offen offset:2048// 00000000908C: E05C1800 808354E2
	v_mfma_f32_16x16x32_fp8_fp8 v[24:27], a[46:47], a[14:15], v[24:27]// 000000009094: D3F30018 1C621D2E
	v_mfma_f32_16x16x32_fp8_fp8 v[28:31], a[48:49], a[8:9], 0  // 00000000909C: D3F3001C 1A021130
	v_mfma_f32_16x16x32_fp8_fp8 v[28:31], a[50:51], a[10:11], v[28:31]// 0000000090A4: D3F3001C 1C721532
	v_mfma_f32_16x16x32_fp8_fp8 v[28:31], a[52:53], a[12:13], v[28:31]// 0000000090AC: D3F3001C 1C721934
	buffer_load_dwordx4 a[88:91], v225, s[12:15], 0 offen offset:3072// 0000000090B4: E05C1C00 808358E1
	v_mfma_f32_16x16x32_fp8_fp8 v[28:31], a[54:55], a[14:15], v[28:31]// 0000000090BC: D3F3001C 1C721D36
	v_mfma_f32_16x16x32_fp8_fp8 v[32:35], a[56:57], a[8:9], 0  // 0000000090C4: D3F30020 1A021138
	v_mfma_f32_16x16x32_fp8_fp8 v[32:35], a[58:59], a[10:11], v[32:35]// 0000000090CC: D3F30020 1C82153A
	v_mfma_f32_16x16x32_fp8_fp8 v[32:35], a[60:61], a[12:13], v[32:35]// 0000000090D4: D3F30020 1C82193C
	buffer_load_dwordx4 a[92:95], v226, s[12:15], 0 offen offset:3072// 0000000090DC: E05C1C00 80835CE2
	v_mfma_f32_16x16x32_fp8_fp8 v[32:35], a[62:63], a[14:15], v[32:35]// 0000000090E4: D3F30020 1C821D3E
	v_mfma_f32_16x16x32_fp8_fp8 v[36:39], a[32:33], a[16:17], 0// 0000000090EC: D3F30024 1A022120
	v_mfma_f32_16x16x32_fp8_fp8 v[36:39], a[34:35], a[18:19], v[36:39]// 0000000090F4: D3F30024 1C922522
	v_mfma_f32_16x16x32_fp8_fp8 v[36:39], a[36:37], a[20:21], v[36:39]// 0000000090FC: D3F30024 1C922924
	v_mfma_f32_16x16x32_fp8_fp8 v[36:39], a[38:39], a[22:23], v[36:39]// 000000009104: D3F30024 1C922D26
	v_mfma_f32_16x16x32_fp8_fp8 v[40:43], a[40:41], a[16:17], 0// 00000000910C: D3F30028 1A022128
	v_mfma_f32_16x16x32_fp8_fp8 v[40:43], a[42:43], a[18:19], v[40:43]// 000000009114: D3F30028 1CA2252A
	v_mfma_f32_16x16x32_fp8_fp8 v[40:43], a[44:45], a[20:21], v[40:43]// 00000000911C: D3F30028 1CA2292C
	v_mfma_f32_16x16x32_fp8_fp8 v[40:43], a[46:47], a[22:23], v[40:43]// 000000009124: D3F30028 1CA22D2E
	v_mfma_f32_16x16x32_fp8_fp8 v[44:47], a[48:49], a[16:17], 0// 00000000912C: D3F3002C 1A022130
	v_mfma_f32_16x16x32_fp8_fp8 v[44:47], a[50:51], a[18:19], v[44:47]// 000000009134: D3F3002C 1CB22532
	v_mfma_f32_16x16x32_fp8_fp8 v[44:47], a[52:53], a[20:21], v[44:47]// 00000000913C: D3F3002C 1CB22934
	v_mfma_f32_16x16x32_fp8_fp8 v[44:47], a[54:55], a[22:23], v[44:47]// 000000009144: D3F3002C 1CB22D36
	v_mfma_f32_16x16x32_fp8_fp8 v[48:51], a[56:57], a[16:17], 0// 00000000914C: D3F30030 1A022138
	v_mfma_f32_16x16x32_fp8_fp8 v[48:51], a[58:59], a[18:19], v[48:51]// 000000009154: D3F30030 1CC2253A
	v_mfma_f32_16x16x32_fp8_fp8 v[48:51], a[60:61], a[20:21], v[48:51]// 00000000915C: D3F30030 1CC2293C
	v_mfma_f32_16x16x32_fp8_fp8 v[48:51], a[62:63], a[22:23], v[48:51]// 000000009164: D3F30030 1CC22D3E
	v_mfma_f32_16x16x32_fp8_fp8 v[52:55], a[32:33], a[24:25], 0// 00000000916C: D3F30034 1A023120
	v_mfma_f32_16x16x32_fp8_fp8 v[52:55], a[34:35], a[26:27], v[52:55]// 000000009174: D3F30034 1CD23522
	v_mfma_f32_16x16x32_fp8_fp8 v[52:55], a[36:37], a[28:29], v[52:55]// 00000000917C: D3F30034 1CD23924
	v_mfma_f32_16x16x32_fp8_fp8 v[52:55], a[38:39], a[30:31], v[52:55]// 000000009184: D3F30034 1CD23D26
	v_mfma_f32_16x16x32_fp8_fp8 v[56:59], a[40:41], a[24:25], 0// 00000000918C: D3F30038 1A023128
	v_mfma_f32_16x16x32_fp8_fp8 v[56:59], a[42:43], a[26:27], v[56:59]// 000000009194: D3F30038 1CE2352A
	v_mfma_f32_16x16x32_fp8_fp8 v[56:59], a[44:45], a[28:29], v[56:59]// 00000000919C: D3F30038 1CE2392C
	v_mfma_f32_16x16x32_fp8_fp8 v[56:59], a[46:47], a[30:31], v[56:59]// 0000000091A4: D3F30038 1CE23D2E
	v_mfma_f32_16x16x32_fp8_fp8 v[60:63], a[48:49], a[24:25], 0// 0000000091AC: D3F3003C 1A023130
	v_mfma_f32_16x16x32_fp8_fp8 v[60:63], a[50:51], a[26:27], v[60:63]// 0000000091B4: D3F3003C 1CF23532
	v_mfma_f32_16x16x32_fp8_fp8 v[60:63], a[52:53], a[28:29], v[60:63]// 0000000091BC: D3F3003C 1CF23934
	v_mfma_f32_16x16x32_fp8_fp8 v[60:63], a[54:55], a[30:31], v[60:63]// 0000000091C4: D3F3003C 1CF23D36
	v_mfma_f32_16x16x32_fp8_fp8 v[64:67], a[56:57], a[24:25], 0// 0000000091CC: D3F30040 1A023138
	v_mfma_f32_16x16x32_fp8_fp8 v[64:67], a[58:59], a[26:27], v[64:67]// 0000000091D4: D3F30040 1D02353A
	v_mfma_f32_16x16x32_fp8_fp8 v[64:67], a[60:61], a[28:29], v[64:67]// 0000000091DC: D3F30040 1D02393C
	v_mfma_f32_16x16x32_fp8_fp8 v[64:67], a[62:63], a[30:31], v[64:67]// 0000000091E4: D3F30040 1D023D3E
	s_waitcnt vmcnt(16)                                        // 0000000091EC: BF8C4F70
	v_pk_mul_f32 v[4:5], v[132:133], v[4:5]                    // 0000000091F0: D3B14004 18020984
	v_pk_mul_f32 v[6:7], v[132:133], v[6:7]                    // 0000000091F8: D3B14006 18020D84
	v_mul_f32_dpp v4, v140, v4 row_newbcast:0 row_mask:0xf bank_mask:0xf// 000000009200: 0A0808FA FF01508C
	v_mul_f32_dpp v5, v140, v5 row_newbcast:1 row_mask:0xf bank_mask:0xf// 000000009208: 0A0A0AFA FF01518C
	v_mul_f32_dpp v6, v140, v6 row_newbcast:2 row_mask:0xf bank_mask:0xf// 000000009210: 0A0C0CFA FF01528C
	v_mul_f32_dpp v7, v140, v7 row_newbcast:3 row_mask:0xf bank_mask:0xf// 000000009218: 0A0E0EFA FF01538C
	v_pk_mul_f32 v[8:9], v[132:133], v[8:9]                    // 000000009220: D3B14008 18021184
	v_pk_mul_f32 v[10:11], v[132:133], v[10:11]                // 000000009228: D3B1400A 18021584
	v_mul_f32_dpp v8, v140, v8 row_newbcast:4 row_mask:0xf bank_mask:0xf// 000000009230: 0A1010FA FF01548C
	v_mul_f32_dpp v9, v140, v9 row_newbcast:5 row_mask:0xf bank_mask:0xf// 000000009238: 0A1212FA FF01558C
	v_mul_f32_dpp v10, v140, v10 row_newbcast:6 row_mask:0xf bank_mask:0xf// 000000009240: 0A1414FA FF01568C
	v_mul_f32_dpp v11, v140, v11 row_newbcast:7 row_mask:0xf bank_mask:0xf// 000000009248: 0A1616FA FF01578C
	v_pk_mul_f32 v[12:13], v[132:133], v[12:13]                // 000000009250: D3B1400C 18021984
	v_pk_mul_f32 v[14:15], v[132:133], v[14:15]                // 000000009258: D3B1400E 18021D84
	v_mul_f32_dpp v12, v140, v12 row_newbcast:8 row_mask:0xf bank_mask:0xf// 000000009260: 0A1818FA FF01588C
	v_mul_f32_dpp v13, v140, v13 row_newbcast:9 row_mask:0xf bank_mask:0xf// 000000009268: 0A1A1AFA FF01598C
	v_mul_f32_dpp v14, v140, v14 row_newbcast:10 row_mask:0xf bank_mask:0xf// 000000009270: 0A1C1CFA FF015A8C
	v_mul_f32_dpp v15, v140, v15 row_newbcast:11 row_mask:0xf bank_mask:0xf// 000000009278: 0A1E1EFA FF015B8C
	v_pk_mul_f32 v[16:17], v[132:133], v[16:17]                // 000000009280: D3B14010 18022184
	v_pk_mul_f32 v[18:19], v[132:133], v[18:19]                // 000000009288: D3B14012 18022584
	v_mul_f32_dpp v16, v140, v16 row_newbcast:12 row_mask:0xf bank_mask:0xf// 000000009290: 0A2020FA FF015C8C
	v_mul_f32_dpp v17, v140, v17 row_newbcast:13 row_mask:0xf bank_mask:0xf// 000000009298: 0A2222FA FF015D8C
	v_mul_f32_dpp v18, v140, v18 row_newbcast:14 row_mask:0xf bank_mask:0xf// 0000000092A0: 0A2424FA FF015E8C
	v_mul_f32_dpp v19, v140, v19 row_newbcast:15 row_mask:0xf bank_mask:0xf// 0000000092A8: 0A2626FA FF015F8C
	v_pk_mul_f32 v[20:21], v[134:135], v[20:21]                // 0000000092B0: D3B14014 18022986
	v_pk_mul_f32 v[22:23], v[134:135], v[22:23]                // 0000000092B8: D3B14016 18022D86
	v_mul_f32_dpp v20, v140, v20 row_newbcast:0 row_mask:0xf bank_mask:0xf// 0000000092C0: 0A2828FA FF01508C
	v_mul_f32_dpp v21, v140, v21 row_newbcast:1 row_mask:0xf bank_mask:0xf// 0000000092C8: 0A2A2AFA FF01518C
	v_mul_f32_dpp v22, v140, v22 row_newbcast:2 row_mask:0xf bank_mask:0xf// 0000000092D0: 0A2C2CFA FF01528C
	v_mul_f32_dpp v23, v140, v23 row_newbcast:3 row_mask:0xf bank_mask:0xf// 0000000092D8: 0A2E2EFA FF01538C
	v_pk_mul_f32 v[24:25], v[134:135], v[24:25]                // 0000000092E0: D3B14018 18023186
	v_pk_mul_f32 v[26:27], v[134:135], v[26:27]                // 0000000092E8: D3B1401A 18023586
	v_mul_f32_dpp v24, v140, v24 row_newbcast:4 row_mask:0xf bank_mask:0xf// 0000000092F0: 0A3030FA FF01548C
	v_mul_f32_dpp v25, v140, v25 row_newbcast:5 row_mask:0xf bank_mask:0xf// 0000000092F8: 0A3232FA FF01558C
	v_mul_f32_dpp v26, v140, v26 row_newbcast:6 row_mask:0xf bank_mask:0xf// 000000009300: 0A3434FA FF01568C
	v_mul_f32_dpp v27, v140, v27 row_newbcast:7 row_mask:0xf bank_mask:0xf// 000000009308: 0A3636FA FF01578C
	v_pk_mul_f32 v[28:29], v[134:135], v[28:29]                // 000000009310: D3B1401C 18023986
	v_pk_mul_f32 v[30:31], v[134:135], v[30:31]                // 000000009318: D3B1401E 18023D86
	v_mul_f32_dpp v28, v140, v28 row_newbcast:8 row_mask:0xf bank_mask:0xf// 000000009320: 0A3838FA FF01588C
	v_mul_f32_dpp v29, v140, v29 row_newbcast:9 row_mask:0xf bank_mask:0xf// 000000009328: 0A3A3AFA FF01598C
	v_mul_f32_dpp v30, v140, v30 row_newbcast:10 row_mask:0xf bank_mask:0xf// 000000009330: 0A3C3CFA FF015A8C
	v_mul_f32_dpp v31, v140, v31 row_newbcast:11 row_mask:0xf bank_mask:0xf// 000000009338: 0A3E3EFA FF015B8C
	v_pk_mul_f32 v[32:33], v[134:135], v[32:33]                // 000000009340: D3B14020 18024186
	v_pk_mul_f32 v[34:35], v[134:135], v[34:35]                // 000000009348: D3B14022 18024586
	v_mul_f32_dpp v32, v140, v32 row_newbcast:12 row_mask:0xf bank_mask:0xf// 000000009350: 0A4040FA FF015C8C
	v_mul_f32_dpp v33, v140, v33 row_newbcast:13 row_mask:0xf bank_mask:0xf// 000000009358: 0A4242FA FF015D8C
	v_mul_f32_dpp v34, v140, v34 row_newbcast:14 row_mask:0xf bank_mask:0xf// 000000009360: 0A4444FA FF015E8C
	v_mul_f32_dpp v35, v140, v35 row_newbcast:15 row_mask:0xf bank_mask:0xf// 000000009368: 0A4646FA FF015F8C
	v_pk_mul_f32 v[36:37], v[136:137], v[36:37]                // 000000009370: D3B14024 18024988
	v_pk_mul_f32 v[38:39], v[136:137], v[38:39]                // 000000009378: D3B14026 18024D88
	v_mul_f32_dpp v36, v140, v36 row_newbcast:0 row_mask:0xf bank_mask:0xf// 000000009380: 0A4848FA FF01508C
	v_mul_f32_dpp v37, v140, v37 row_newbcast:1 row_mask:0xf bank_mask:0xf// 000000009388: 0A4A4AFA FF01518C
	v_mul_f32_dpp v38, v140, v38 row_newbcast:2 row_mask:0xf bank_mask:0xf// 000000009390: 0A4C4CFA FF01528C
	v_mul_f32_dpp v39, v140, v39 row_newbcast:3 row_mask:0xf bank_mask:0xf// 000000009398: 0A4E4EFA FF01538C
	v_pk_mul_f32 v[40:41], v[136:137], v[40:41]                // 0000000093A0: D3B14028 18025188
	v_pk_mul_f32 v[42:43], v[136:137], v[42:43]                // 0000000093A8: D3B1402A 18025588
	v_mul_f32_dpp v40, v140, v40 row_newbcast:4 row_mask:0xf bank_mask:0xf// 0000000093B0: 0A5050FA FF01548C
	v_mul_f32_dpp v41, v140, v41 row_newbcast:5 row_mask:0xf bank_mask:0xf// 0000000093B8: 0A5252FA FF01558C
	v_mul_f32_dpp v42, v140, v42 row_newbcast:6 row_mask:0xf bank_mask:0xf// 0000000093C0: 0A5454FA FF01568C
	v_mul_f32_dpp v43, v140, v43 row_newbcast:7 row_mask:0xf bank_mask:0xf// 0000000093C8: 0A5656FA FF01578C
	v_pk_mul_f32 v[44:45], v[136:137], v[44:45]                // 0000000093D0: D3B1402C 18025988
	v_pk_mul_f32 v[46:47], v[136:137], v[46:47]                // 0000000093D8: D3B1402E 18025D88
	v_mul_f32_dpp v44, v140, v44 row_newbcast:8 row_mask:0xf bank_mask:0xf// 0000000093E0: 0A5858FA FF01588C
	v_mul_f32_dpp v45, v140, v45 row_newbcast:9 row_mask:0xf bank_mask:0xf// 0000000093E8: 0A5A5AFA FF01598C
	v_mul_f32_dpp v46, v140, v46 row_newbcast:10 row_mask:0xf bank_mask:0xf// 0000000093F0: 0A5C5CFA FF015A8C
	v_mul_f32_dpp v47, v140, v47 row_newbcast:11 row_mask:0xf bank_mask:0xf// 0000000093F8: 0A5E5EFA FF015B8C
	v_pk_mul_f32 v[48:49], v[136:137], v[48:49]                // 000000009400: D3B14030 18026188
	v_pk_mul_f32 v[50:51], v[136:137], v[50:51]                // 000000009408: D3B14032 18026588
	v_mul_f32_dpp v48, v140, v48 row_newbcast:12 row_mask:0xf bank_mask:0xf// 000000009410: 0A6060FA FF015C8C
	v_mul_f32_dpp v49, v140, v49 row_newbcast:13 row_mask:0xf bank_mask:0xf// 000000009418: 0A6262FA FF015D8C
	v_mul_f32_dpp v50, v140, v50 row_newbcast:14 row_mask:0xf bank_mask:0xf// 000000009420: 0A6464FA FF015E8C
	v_mul_f32_dpp v51, v140, v51 row_newbcast:15 row_mask:0xf bank_mask:0xf// 000000009428: 0A6666FA FF015F8C
	v_pk_mul_f32 v[52:53], v[138:139], v[52:53]                // 000000009430: D3B14034 1802698A
	v_pk_mul_f32 v[54:55], v[138:139], v[54:55]                // 000000009438: D3B14036 18026D8A
	v_mul_f32_dpp v52, v140, v52 row_newbcast:0 row_mask:0xf bank_mask:0xf// 000000009440: 0A6868FA FF01508C
	v_mul_f32_dpp v53, v140, v53 row_newbcast:1 row_mask:0xf bank_mask:0xf// 000000009448: 0A6A6AFA FF01518C
	v_mul_f32_dpp v54, v140, v54 row_newbcast:2 row_mask:0xf bank_mask:0xf// 000000009450: 0A6C6CFA FF01528C
	v_mul_f32_dpp v55, v140, v55 row_newbcast:3 row_mask:0xf bank_mask:0xf// 000000009458: 0A6E6EFA FF01538C
	v_pk_mul_f32 v[56:57], v[138:139], v[56:57]                // 000000009460: D3B14038 1802718A
	v_pk_mul_f32 v[58:59], v[138:139], v[58:59]                // 000000009468: D3B1403A 1802758A
	v_mul_f32_dpp v56, v140, v56 row_newbcast:4 row_mask:0xf bank_mask:0xf// 000000009470: 0A7070FA FF01548C
	v_mul_f32_dpp v57, v140, v57 row_newbcast:5 row_mask:0xf bank_mask:0xf// 000000009478: 0A7272FA FF01558C
	v_mul_f32_dpp v58, v140, v58 row_newbcast:6 row_mask:0xf bank_mask:0xf// 000000009480: 0A7474FA FF01568C
	v_mul_f32_dpp v59, v140, v59 row_newbcast:7 row_mask:0xf bank_mask:0xf// 000000009488: 0A7676FA FF01578C
	v_pk_mul_f32 v[60:61], v[138:139], v[60:61]                // 000000009490: D3B1403C 1802798A
	v_pk_mul_f32 v[62:63], v[138:139], v[62:63]                // 000000009498: D3B1403E 18027D8A
	v_mul_f32_dpp v60, v140, v60 row_newbcast:8 row_mask:0xf bank_mask:0xf// 0000000094A0: 0A7878FA FF01588C
	v_mul_f32_dpp v61, v140, v61 row_newbcast:9 row_mask:0xf bank_mask:0xf// 0000000094A8: 0A7A7AFA FF01598C
	v_mul_f32_dpp v62, v140, v62 row_newbcast:10 row_mask:0xf bank_mask:0xf// 0000000094B0: 0A7C7CFA FF015A8C
	v_mul_f32_dpp v63, v140, v63 row_newbcast:11 row_mask:0xf bank_mask:0xf// 0000000094B8: 0A7E7EFA FF015B8C
	v_pk_mul_f32 v[64:65], v[138:139], v[64:65]                // 0000000094C0: D3B14040 1802818A
	v_pk_mul_f32 v[66:67], v[138:139], v[66:67]                // 0000000094C8: D3B14042 1802858A
	v_mul_f32_dpp v64, v140, v64 row_newbcast:12 row_mask:0xf bank_mask:0xf// 0000000094D0: 0A8080FA FF015C8C
	v_mul_f32_dpp v65, v140, v65 row_newbcast:13 row_mask:0xf bank_mask:0xf// 0000000094D8: 0A8282FA FF015D8C
	v_mul_f32_dpp v66, v140, v66 row_newbcast:14 row_mask:0xf bank_mask:0xf// 0000000094E0: 0A8484FA FF015E8C
	v_mul_f32_dpp v67, v140, v67 row_newbcast:15 row_mask:0xf bank_mask:0xf// 0000000094E8: 0A8686FA FF015F8C
	v_mov_b32_e32 v176, v4                                     // 0000000094F0: 7F600304
	v_max3_f32 v176, v4, v5, v176                              // 0000000094F4: D1D300B0 06C20B04
	v_max3_f32 v176, v6, v7, v176                              // 0000000094FC: D1D300B0 06C20F06
	v_max3_f32 v176, v8, v9, v176                              // 000000009504: D1D300B0 06C21308
	v_max3_f32 v176, v10, v11, v176                            // 00000000950C: D1D300B0 06C2170A
	v_max3_f32 v176, v12, v13, v176                            // 000000009514: D1D300B0 06C21B0C
	v_max3_f32 v176, v14, v15, v176                            // 00000000951C: D1D300B0 06C21F0E
	v_max3_f32 v176, v16, v17, v176                            // 000000009524: D1D300B0 06C22310
	v_max3_f32 v176, v18, v19, v176                            // 00000000952C: D1D300B0 06C22712
	v_mov_b32_e32 v177, v20                                    // 000000009534: 7F620314
	v_max3_f32 v177, v20, v21, v177                            // 000000009538: D1D300B1 06C62B14
	v_max3_f32 v177, v22, v23, v177                            // 000000009540: D1D300B1 06C62F16
	v_max3_f32 v177, v24, v25, v177                            // 000000009548: D1D300B1 06C63318
	v_max3_f32 v177, v26, v27, v177                            // 000000009550: D1D300B1 06C6371A
	v_max3_f32 v177, v28, v29, v177                            // 000000009558: D1D300B1 06C63B1C
	v_max3_f32 v177, v30, v31, v177                            // 000000009560: D1D300B1 06C63F1E
	v_max3_f32 v177, v32, v33, v177                            // 000000009568: D1D300B1 06C64320
	v_max3_f32 v177, v34, v35, v177                            // 000000009570: D1D300B1 06C64722
	v_mov_b32_e32 v178, v36                                    // 000000009578: 7F640324
	v_max3_f32 v178, v36, v37, v178                            // 00000000957C: D1D300B2 06CA4B24
	v_max3_f32 v178, v38, v39, v178                            // 000000009584: D1D300B2 06CA4F26
	v_max3_f32 v178, v40, v41, v178                            // 00000000958C: D1D300B2 06CA5328
	v_max3_f32 v178, v42, v43, v178                            // 000000009594: D1D300B2 06CA572A
	v_max3_f32 v178, v44, v45, v178                            // 00000000959C: D1D300B2 06CA5B2C
	v_max3_f32 v178, v46, v47, v178                            // 0000000095A4: D1D300B2 06CA5F2E
	v_max3_f32 v178, v48, v49, v178                            // 0000000095AC: D1D300B2 06CA6330
	v_max3_f32 v178, v50, v51, v178                            // 0000000095B4: D1D300B2 06CA6732
	v_mov_b32_e32 v179, v52                                    // 0000000095BC: 7F660334
	v_max3_f32 v179, v52, v53, v179                            // 0000000095C0: D1D300B3 06CE6B34
	v_max3_f32 v179, v54, v55, v179                            // 0000000095C8: D1D300B3 06CE6F36
	v_max3_f32 v179, v56, v57, v179                            // 0000000095D0: D1D300B3 06CE7338
	v_max3_f32 v179, v58, v59, v179                            // 0000000095D8: D1D300B3 06CE773A
	v_max3_f32 v179, v60, v61, v179                            // 0000000095E0: D1D300B3 06CE7B3C
	v_max3_f32 v179, v62, v63, v179                            // 0000000095E8: D1D300B3 06CE7F3E
	v_max3_f32 v179, v64, v65, v179                            // 0000000095F0: D1D300B3 06CE8340
	v_max3_f32 v179, v66, v67, v179                            // 0000000095F8: D1D300B3 06CE8742
	v_pk_mul_f32 v[100:101], v[160:161], v[100:101]            // 000000009600: D3B14064 1802C9A0
	v_pk_mul_f32 v[102:103], v[160:161], v[102:103]            // 000000009608: D3B14066 1802CDA0
	v_pk_mul_f32 v[104:105], v[160:161], v[104:105]            // 000000009610: D3B14068 1802D1A0
	v_pk_mul_f32 v[106:107], v[160:161], v[106:107]            // 000000009618: D3B1406A 1802D5A0
	v_pk_mul_f32 v[108:109], v[162:163], v[108:109]            // 000000009620: D3B1406C 1802D9A2
	v_pk_mul_f32 v[110:111], v[162:163], v[110:111]            // 000000009628: D3B1406E 1802DDA2
	v_pk_mul_f32 v[112:113], v[162:163], v[112:113]            // 000000009630: D3B14070 1802E1A2
	v_pk_mul_f32 v[114:115], v[162:163], v[114:115]            // 000000009638: D3B14072 1802E5A2
	v_pk_mul_f32 v[116:117], v[164:165], v[116:117]            // 000000009640: D3B14074 1802E9A4
	v_pk_mul_f32 v[118:119], v[164:165], v[118:119]            // 000000009648: D3B14076 1802EDA4
	v_pk_mul_f32 v[120:121], v[164:165], v[120:121]            // 000000009650: D3B14078 1802F1A4
	v_pk_mul_f32 v[122:123], v[164:165], v[122:123]            // 000000009658: D3B1407A 1802F5A4
	v_pk_mul_f32 v[124:125], v[166:167], v[124:125]            // 000000009660: D3B1407C 1802F9A6
	v_pk_mul_f32 v[126:127], v[166:167], v[126:127]            // 000000009668: D3B1407E 1802FDA6
	v_pk_mul_f32 v[128:129], v[166:167], v[128:129]            // 000000009670: D3B14080 180301A6
	v_pk_mul_f32 v[130:131], v[166:167], v[130:131]            // 000000009678: D3B14082 180305A6
	ds_bpermute_b32 v180, v200, v176                           // 000000009680: D87E0000 B400B0C8
	ds_bpermute_b32 v181, v201, v176                           // 000000009688: D87E0000 B500B0C9
	ds_bpermute_b32 v182, v202, v176                           // 000000009690: D87E0000 B600B0CA
	ds_bpermute_b32 v183, v200, v177                           // 000000009698: D87E0000 B700B1C8
	ds_bpermute_b32 v184, v201, v177                           // 0000000096A0: D87E0000 B800B1C9
	ds_bpermute_b32 v185, v202, v177                           // 0000000096A8: D87E0000 B900B1CA
	ds_bpermute_b32 v186, v200, v178                           // 0000000096B0: D87E0000 BA00B2C8
	ds_bpermute_b32 v187, v201, v178                           // 0000000096B8: D87E0000 BB00B2C9
	ds_bpermute_b32 v188, v202, v178                           // 0000000096C0: D87E0000 BC00B2CA
	ds_bpermute_b32 v189, v200, v179                           // 0000000096C8: D87E0000 BD00B3C8
	ds_bpermute_b32 v190, v201, v179                           // 0000000096D0: D87E0000 BE00B3C9
	ds_bpermute_b32 v191, v202, v179                           // 0000000096D8: D87E0000 BF00B3CA
	s_waitcnt lgkmcnt(9)                                       // 0000000096E0: BF8CC97F
	v_max3_f32 v176, v180, v181, v176                          // 0000000096E4: D1D300B0 06C36BB4
	v_max_f32_e32 v176, v182, v176                             // 0000000096EC: 176161B6
	s_waitcnt lgkmcnt(6)                                       // 0000000096F0: BF8CC67F
	v_max3_f32 v177, v183, v184, v177                          // 0000000096F4: D1D300B1 06C771B7
	v_max_f32_e32 v177, v185, v177                             // 0000000096FC: 176363B9
	s_waitcnt lgkmcnt(3)                                       // 000000009700: BF8CC37F
	v_max3_f32 v178, v186, v187, v178                          // 000000009704: D1D300B2 06CB77BA
	v_max_f32_e32 v178, v188, v178                             // 00000000970C: 176565BC
	s_waitcnt lgkmcnt(0)                                       // 000000009710: BF8CC07F
	v_max3_f32 v179, v189, v190, v179                          // 000000009714: D1D300B3 06CF7DBD
	v_max_f32_e32 v179, v191, v179                             // 00000000971C: 176767BF
	ds_write_b128 v247, v[176:179]                             // 000000009720: D9BE0000 0000B0F7
	s_waitcnt lgkmcnt(0)                                       // 000000009728: BF8CC07F
	s_barrier                                                  // 00000000972C: BF8A0000
	v_pk_mul_f32 v[68:69], v[144:145], v[68:69]                // 000000009730: D3B14044 18028990
	v_pk_mul_f32 v[70:71], v[144:145], v[70:71]                // 000000009738: D3B14046 18028D90
	v_pk_mul_f32 v[72:73], v[144:145], v[72:73]                // 000000009740: D3B14048 18029190
	v_pk_mul_f32 v[74:75], v[144:145], v[74:75]                // 000000009748: D3B1404A 18029590
	v_pk_mul_f32 v[76:77], v[146:147], v[76:77]                // 000000009750: D3B1404C 18029992
	v_pk_mul_f32 v[78:79], v[146:147], v[78:79]                // 000000009758: D3B1404E 18029D92
	v_pk_mul_f32 v[80:81], v[146:147], v[80:81]                // 000000009760: D3B14050 1802A192
	v_pk_mul_f32 v[82:83], v[146:147], v[82:83]                // 000000009768: D3B14052 1802A592
	v_pk_mul_f32 v[84:85], v[148:149], v[84:85]                // 000000009770: D3B14054 1802A994
	v_pk_mul_f32 v[86:87], v[148:149], v[86:87]                // 000000009778: D3B14056 1802AD94
	v_pk_mul_f32 v[88:89], v[148:149], v[88:89]                // 000000009780: D3B14058 1802B194
	v_pk_mul_f32 v[90:91], v[148:149], v[90:91]                // 000000009788: D3B1405A 1802B594
	v_pk_mul_f32 v[92:93], v[150:151], v[92:93]                // 000000009790: D3B1405C 1802B996
	v_pk_mul_f32 v[94:95], v[150:151], v[94:95]                // 000000009798: D3B1405E 1802BD96
	v_pk_mul_f32 v[96:97], v[150:151], v[96:97]                // 0000000097A0: D3B14060 1802C196
	v_pk_mul_f32 v[98:99], v[150:151], v[98:99]                // 0000000097A8: D3B14062 1802C596
	ds_read_b128 v[180:183], v248                              // 0000000097B0: D9FE0000 B40000F8
	ds_read_b128 v[184:187], v248 offset:256                   // 0000000097B8: D9FE0100 B80000F8
	ds_read_b128 v[188:191], v248 offset:512                   // 0000000097C0: D9FE0200 BC0000F8
	ds_read_b128 v[192:195], v248 offset:768                   // 0000000097C8: D9FE0300 C00000F8
	s_waitcnt lgkmcnt(0)                                       // 0000000097D0: BF8CC07F
	v_max3_f32 v176, v180, v184, v176                          // 0000000097D4: D1D300B0 06C371B4
	v_max3_f32 v177, v181, v185, v177                          // 0000000097DC: D1D300B1 06C773B5
	v_max3_f32 v178, v182, v186, v178                          // 0000000097E4: D1D300B2 06CB75B6
	v_max3_f32 v179, v183, v187, v179                          // 0000000097EC: D1D300B3 06CF77B7
	v_max3_f32 v176, v188, v192, v176                          // 0000000097F4: D1D300B0 06C381BC
	v_max3_f32 v177, v189, v193, v177                          // 0000000097FC: D1D300B1 06C783BD
	v_max3_f32 v178, v190, v194, v178                          // 000000009804: D1D300B2 06CB85BE
	v_max3_f32 v179, v191, v195, v179                          // 00000000980C: D1D300B3 06CF87BF
	v_max_f32_e32 v156, v176, v152                             // 000000009814: 173931B0
	v_mul_f32_e64 v196, -s46, v156                             // 000000009818: D10500C4 2003382E
	v_mov_b32_e32 v197, v196                                   // 000000009820: 7F8A03C4
	v_pk_fma_f32 v[4:5], v[4:5], s[46:47], v[196:197]          // 000000009824: D3B04004 1F105D04
	v_pk_fma_f32 v[6:7], v[6:7], s[46:47], v[196:197]          // 00000000982C: D3B04006 1F105D06
	v_exp_f32_e32 v4, v4                                       // 000000009834: 7E084104
	v_exp_f32_e32 v5, v5                                       // 000000009838: 7E0A4105
	v_exp_f32_e32 v6, v6                                       // 00000000983C: 7E0C4106
	v_exp_f32_e32 v7, v7                                       // 000000009840: 7E0E4107
	v_pk_fma_f32 v[8:9], v[8:9], s[46:47], v[196:197]          // 000000009844: D3B04008 1F105D08
	v_pk_fma_f32 v[10:11], v[10:11], s[46:47], v[196:197]      // 00000000984C: D3B0400A 1F105D0A
	v_exp_f32_e32 v8, v8                                       // 000000009854: 7E104108
	v_exp_f32_e32 v9, v9                                       // 000000009858: 7E124109
	v_exp_f32_e32 v10, v10                                     // 00000000985C: 7E14410A
	v_exp_f32_e32 v11, v11                                     // 000000009860: 7E16410B
	v_pk_fma_f32 v[12:13], v[12:13], s[46:47], v[196:197]      // 000000009864: D3B0400C 1F105D0C
	v_pk_fma_f32 v[14:15], v[14:15], s[46:47], v[196:197]      // 00000000986C: D3B0400E 1F105D0E
	v_exp_f32_e32 v12, v12                                     // 000000009874: 7E18410C
	v_exp_f32_e32 v13, v13                                     // 000000009878: 7E1A410D
	v_exp_f32_e32 v14, v14                                     // 00000000987C: 7E1C410E
	v_exp_f32_e32 v15, v15                                     // 000000009880: 7E1E410F
	v_pk_fma_f32 v[16:17], v[16:17], s[46:47], v[196:197]      // 000000009884: D3B04010 1F105D10
	v_pk_fma_f32 v[18:19], v[18:19], s[46:47], v[196:197]      // 00000000988C: D3B04012 1F105D12
	v_exp_f32_e32 v16, v16                                     // 000000009894: 7E204110
	v_exp_f32_e32 v17, v17                                     // 000000009898: 7E224111
	v_exp_f32_e32 v18, v18                                     // 00000000989C: 7E244112
	v_exp_f32_e32 v19, v19                                     // 0000000098A0: 7E264113
	v_max_f32_e32 v157, v177, v153                             // 0000000098A4: 173B33B1
	v_mul_f32_e64 v196, -s46, v157                             // 0000000098A8: D10500C4 20033A2E
	v_mov_b32_e32 v197, v196                                   // 0000000098B0: 7F8A03C4
	v_pk_fma_f32 v[20:21], v[20:21], s[46:47], v[196:197]      // 0000000098B4: D3B04014 1F105D14
	v_pk_fma_f32 v[22:23], v[22:23], s[46:47], v[196:197]      // 0000000098BC: D3B04016 1F105D16
	v_exp_f32_e32 v20, v20                                     // 0000000098C4: 7E284114
	v_exp_f32_e32 v21, v21                                     // 0000000098C8: 7E2A4115
	v_exp_f32_e32 v22, v22                                     // 0000000098CC: 7E2C4116
	v_exp_f32_e32 v23, v23                                     // 0000000098D0: 7E2E4117
	v_pk_fma_f32 v[24:25], v[24:25], s[46:47], v[196:197]      // 0000000098D4: D3B04018 1F105D18
	v_pk_fma_f32 v[26:27], v[26:27], s[46:47], v[196:197]      // 0000000098DC: D3B0401A 1F105D1A
	v_exp_f32_e32 v24, v24                                     // 0000000098E4: 7E304118
	v_exp_f32_e32 v25, v25                                     // 0000000098E8: 7E324119
	v_exp_f32_e32 v26, v26                                     // 0000000098EC: 7E34411A
	v_exp_f32_e32 v27, v27                                     // 0000000098F0: 7E36411B
	v_pk_fma_f32 v[28:29], v[28:29], s[46:47], v[196:197]      // 0000000098F4: D3B0401C 1F105D1C
	v_pk_fma_f32 v[30:31], v[30:31], s[46:47], v[196:197]      // 0000000098FC: D3B0401E 1F105D1E
	v_exp_f32_e32 v28, v28                                     // 000000009904: 7E38411C
	v_exp_f32_e32 v29, v29                                     // 000000009908: 7E3A411D
	v_exp_f32_e32 v30, v30                                     // 00000000990C: 7E3C411E
	v_exp_f32_e32 v31, v31                                     // 000000009910: 7E3E411F
	v_pk_fma_f32 v[32:33], v[32:33], s[46:47], v[196:197]      // 000000009914: D3B04020 1F105D20
	v_pk_fma_f32 v[34:35], v[34:35], s[46:47], v[196:197]      // 00000000991C: D3B04022 1F105D22
	v_exp_f32_e32 v32, v32                                     // 000000009924: 7E404120
	v_exp_f32_e32 v33, v33                                     // 000000009928: 7E424121
	v_exp_f32_e32 v34, v34                                     // 00000000992C: 7E444122
	v_exp_f32_e32 v35, v35                                     // 000000009930: 7E464123
	v_max_f32_e32 v158, v178, v154                             // 000000009934: 173D35B2
	v_mul_f32_e64 v196, -s46, v158                             // 000000009938: D10500C4 20033C2E
	v_mov_b32_e32 v197, v196                                   // 000000009940: 7F8A03C4
	v_pk_fma_f32 v[36:37], v[36:37], s[46:47], v[196:197]      // 000000009944: D3B04024 1F105D24
	v_pk_fma_f32 v[38:39], v[38:39], s[46:47], v[196:197]      // 00000000994C: D3B04026 1F105D26
	v_exp_f32_e32 v36, v36                                     // 000000009954: 7E484124
	v_exp_f32_e32 v37, v37                                     // 000000009958: 7E4A4125
	v_exp_f32_e32 v38, v38                                     // 00000000995C: 7E4C4126
	v_exp_f32_e32 v39, v39                                     // 000000009960: 7E4E4127
	v_pk_fma_f32 v[40:41], v[40:41], s[46:47], v[196:197]      // 000000009964: D3B04028 1F105D28
	v_pk_fma_f32 v[42:43], v[42:43], s[46:47], v[196:197]      // 00000000996C: D3B0402A 1F105D2A
	v_exp_f32_e32 v40, v40                                     // 000000009974: 7E504128
	v_exp_f32_e32 v41, v41                                     // 000000009978: 7E524129
	v_exp_f32_e32 v42, v42                                     // 00000000997C: 7E54412A
	v_exp_f32_e32 v43, v43                                     // 000000009980: 7E56412B
	v_pk_fma_f32 v[44:45], v[44:45], s[46:47], v[196:197]      // 000000009984: D3B0402C 1F105D2C
	v_pk_fma_f32 v[46:47], v[46:47], s[46:47], v[196:197]      // 00000000998C: D3B0402E 1F105D2E
	v_exp_f32_e32 v44, v44                                     // 000000009994: 7E58412C
	v_exp_f32_e32 v45, v45                                     // 000000009998: 7E5A412D
	v_exp_f32_e32 v46, v46                                     // 00000000999C: 7E5C412E
	v_exp_f32_e32 v47, v47                                     // 0000000099A0: 7E5E412F
	v_pk_fma_f32 v[48:49], v[48:49], s[46:47], v[196:197]      // 0000000099A4: D3B04030 1F105D30
	v_pk_fma_f32 v[50:51], v[50:51], s[46:47], v[196:197]      // 0000000099AC: D3B04032 1F105D32
	v_exp_f32_e32 v48, v48                                     // 0000000099B4: 7E604130
	v_exp_f32_e32 v49, v49                                     // 0000000099B8: 7E624131
	v_exp_f32_e32 v50, v50                                     // 0000000099BC: 7E644132
	v_exp_f32_e32 v51, v51                                     // 0000000099C0: 7E664133
	v_max_f32_e32 v159, v179, v155                             // 0000000099C4: 173F37B3
	v_mul_f32_e64 v196, -s46, v159                             // 0000000099C8: D10500C4 20033E2E
	v_mov_b32_e32 v197, v196                                   // 0000000099D0: 7F8A03C4
	v_pk_fma_f32 v[52:53], v[52:53], s[46:47], v[196:197]      // 0000000099D4: D3B04034 1F105D34
	v_pk_fma_f32 v[54:55], v[54:55], s[46:47], v[196:197]      // 0000000099DC: D3B04036 1F105D36
	v_exp_f32_e32 v52, v52                                     // 0000000099E4: 7E684134
	v_exp_f32_e32 v53, v53                                     // 0000000099E8: 7E6A4135
	v_exp_f32_e32 v54, v54                                     // 0000000099EC: 7E6C4136
	v_exp_f32_e32 v55, v55                                     // 0000000099F0: 7E6E4137
	v_pk_fma_f32 v[56:57], v[56:57], s[46:47], v[196:197]      // 0000000099F4: D3B04038 1F105D38
	v_pk_fma_f32 v[58:59], v[58:59], s[46:47], v[196:197]      // 0000000099FC: D3B0403A 1F105D3A
	v_exp_f32_e32 v56, v56                                     // 000000009A04: 7E704138
	v_exp_f32_e32 v57, v57                                     // 000000009A08: 7E724139
	v_exp_f32_e32 v58, v58                                     // 000000009A0C: 7E74413A
	v_exp_f32_e32 v59, v59                                     // 000000009A10: 7E76413B
	v_pk_fma_f32 v[60:61], v[60:61], s[46:47], v[196:197]      // 000000009A14: D3B0403C 1F105D3C
	v_pk_fma_f32 v[62:63], v[62:63], s[46:47], v[196:197]      // 000000009A1C: D3B0403E 1F105D3E
	v_exp_f32_e32 v60, v60                                     // 000000009A24: 7E78413C
	v_exp_f32_e32 v61, v61                                     // 000000009A28: 7E7A413D
	v_exp_f32_e32 v62, v62                                     // 000000009A2C: 7E7C413E
	v_exp_f32_e32 v63, v63                                     // 000000009A30: 7E7E413F
	v_pk_fma_f32 v[64:65], v[64:65], s[46:47], v[196:197]      // 000000009A34: D3B04040 1F105D40
	v_pk_fma_f32 v[66:67], v[66:67], s[46:47], v[196:197]      // 000000009A3C: D3B04042 1F105D42
	v_exp_f32_e32 v64, v64                                     // 000000009A44: 7E804140
	v_exp_f32_e32 v65, v65                                     // 000000009A48: 7E824141
	v_exp_f32_e32 v66, v66                                     // 000000009A4C: 7E844142
	v_exp_f32_e32 v67, v67                                     // 000000009A50: 7E864143
	v_sub_f32_e32 v160, v152, v156                             // 000000009A54: 05413998
	v_cmp_eq_u32_e64 s[98:99], v216, v152                      // 000000009A58: D0CA0062 000331D8
	v_cndmask_b32_e64 v160, v160, 0, s[98:99]                  // 000000009A60: D10000A0 018901A0
	v_mov_b32_e32 v152, v156                                   // 000000009A68: 7F30039C
	v_mul_f32_e32 v160, s46, v160                              // 000000009A6C: 0B41402E
	v_exp_f32_e32 v160, v160                                   // 000000009A70: 7F4041A0
	v_sub_f32_e32 v162, v153, v157                             // 000000009A74: 05453B99
	v_cmp_eq_u32_e64 s[98:99], v216, v153                      // 000000009A78: D0CA0062 000333D8
	v_cndmask_b32_e64 v162, v162, 0, s[98:99]                  // 000000009A80: D10000A2 018901A2
	v_mov_b32_e32 v153, v157                                   // 000000009A88: 7F32039D
	v_mul_f32_e32 v162, s46, v162                              // 000000009A8C: 0B45442E
	v_exp_f32_e32 v162, v162                                   // 000000009A90: 7F4441A2
	v_sub_f32_e32 v164, v154, v158                             // 000000009A94: 05493D9A
	v_cmp_eq_u32_e64 s[98:99], v216, v154                      // 000000009A98: D0CA0062 000335D8
	v_cndmask_b32_e64 v164, v164, 0, s[98:99]                  // 000000009AA0: D10000A4 018901A4
	v_mov_b32_e32 v154, v158                                   // 000000009AA8: 7F34039E
	v_mul_f32_e32 v164, s46, v164                              // 000000009AAC: 0B49482E
	v_exp_f32_e32 v164, v164                                   // 000000009AB0: 7F4841A4
	v_sub_f32_e32 v166, v155, v159                             // 000000009AB4: 054D3F9B
	v_cmp_eq_u32_e64 s[98:99], v216, v155                      // 000000009AB8: D0CA0062 000337D8
	v_cndmask_b32_e64 v166, v166, 0, s[98:99]                  // 000000009AC0: D10000A6 018901A6
	v_mov_b32_e32 v155, v159                                   // 000000009AC8: 7F36039F
	v_mul_f32_e32 v166, s46, v166                              // 000000009ACC: 0B4D4C2E
	v_exp_f32_e32 v166, v166                                   // 000000009AD0: 7F4C41A6
	v_mov_b32_e32 v161, v160                                   // 000000009AD4: 7F4203A0
	v_mov_b32_e32 v163, v162                                   // 000000009AD8: 7F4603A2
	v_mov_b32_e32 v165, v164                                   // 000000009ADC: 7F4A03A4
	v_mov_b32_e32 v167, v166                                   // 000000009AE0: 7F4E03A6
	v_mul_f32_e32 v168, v160, v168                             // 000000009AE4: 0B5151A0
	v_mov_b32_e32 v169, 0                                      // 000000009AE8: 7F520280
	v_pk_add_f32 v[168:169], v[4:5], v[168:169]                // 000000009AEC: D3B240A8 18035104
	v_pk_add_f32 v[168:169], v[6:7], v[168:169]                // 000000009AF4: D3B240A8 18035106
	v_pk_add_f32 v[168:169], v[8:9], v[168:169]                // 000000009AFC: D3B240A8 18035108
	v_pk_add_f32 v[168:169], v[10:11], v[168:169]              // 000000009B04: D3B240A8 1803510A
	v_pk_add_f32 v[168:169], v[12:13], v[168:169]              // 000000009B0C: D3B240A8 1803510C
	v_pk_add_f32 v[168:169], v[14:15], v[168:169]              // 000000009B14: D3B240A8 1803510E
	v_pk_add_f32 v[168:169], v[16:17], v[168:169]              // 000000009B1C: D3B240A8 18035110
	v_pk_add_f32 v[168:169], v[18:19], v[168:169]              // 000000009B24: D3B240A8 18035112
	v_add_f32_e32 v168, v169, v168                             // 000000009B2C: 035151A9
	v_mul_f32_e32 v170, v162, v170                             // 000000009B30: 0B5555A2
	v_mov_b32_e32 v171, 0                                      // 000000009B34: 7F560280
	v_pk_add_f32 v[170:171], v[20:21], v[170:171]              // 000000009B38: D3B240AA 18035514
	v_pk_add_f32 v[170:171], v[22:23], v[170:171]              // 000000009B40: D3B240AA 18035516
	v_pk_add_f32 v[170:171], v[24:25], v[170:171]              // 000000009B48: D3B240AA 18035518
	v_pk_add_f32 v[170:171], v[26:27], v[170:171]              // 000000009B50: D3B240AA 1803551A
	v_pk_add_f32 v[170:171], v[28:29], v[170:171]              // 000000009B58: D3B240AA 1803551C
	v_pk_add_f32 v[170:171], v[30:31], v[170:171]              // 000000009B60: D3B240AA 1803551E
	v_pk_add_f32 v[170:171], v[32:33], v[170:171]              // 000000009B68: D3B240AA 18035520
	v_pk_add_f32 v[170:171], v[34:35], v[170:171]              // 000000009B70: D3B240AA 18035522
	v_add_f32_e32 v170, v171, v170                             // 000000009B78: 035555AB
	v_mul_f32_e32 v172, v164, v172                             // 000000009B7C: 0B5959A4
	v_mov_b32_e32 v173, 0                                      // 000000009B80: 7F5A0280
	v_pk_add_f32 v[172:173], v[36:37], v[172:173]              // 000000009B84: D3B240AC 18035924
	v_pk_add_f32 v[172:173], v[38:39], v[172:173]              // 000000009B8C: D3B240AC 18035926
	v_pk_add_f32 v[172:173], v[40:41], v[172:173]              // 000000009B94: D3B240AC 18035928
	v_pk_add_f32 v[172:173], v[42:43], v[172:173]              // 000000009B9C: D3B240AC 1803592A
	v_pk_add_f32 v[172:173], v[44:45], v[172:173]              // 000000009BA4: D3B240AC 1803592C
	v_pk_add_f32 v[172:173], v[46:47], v[172:173]              // 000000009BAC: D3B240AC 1803592E
	v_pk_add_f32 v[172:173], v[48:49], v[172:173]              // 000000009BB4: D3B240AC 18035930
	v_pk_add_f32 v[172:173], v[50:51], v[172:173]              // 000000009BBC: D3B240AC 18035932
	v_add_f32_e32 v172, v173, v172                             // 000000009BC4: 035959AD
	v_mul_f32_e32 v174, v166, v174                             // 000000009BC8: 0B5D5DA6
	v_mov_b32_e32 v175, 0                                      // 000000009BCC: 7F5E0280
	v_pk_add_f32 v[174:175], v[52:53], v[174:175]              // 000000009BD0: D3B240AE 18035D34
	v_pk_add_f32 v[174:175], v[54:55], v[174:175]              // 000000009BD8: D3B240AE 18035D36
	v_pk_add_f32 v[174:175], v[56:57], v[174:175]              // 000000009BE0: D3B240AE 18035D38
	v_pk_add_f32 v[174:175], v[58:59], v[174:175]              // 000000009BE8: D3B240AE 18035D3A
	v_pk_add_f32 v[174:175], v[60:61], v[174:175]              // 000000009BF0: D3B240AE 18035D3C
	v_pk_add_f32 v[174:175], v[62:63], v[174:175]              // 000000009BF8: D3B240AE 18035D3E
	v_pk_add_f32 v[174:175], v[64:65], v[174:175]              // 000000009C00: D3B240AE 18035D40
	v_pk_add_f32 v[174:175], v[66:67], v[174:175]              // 000000009C08: D3B240AE 18035D42
	v_add_f32_e32 v174, v175, v174                             // 000000009C10: 035D5DAF
	v_mul_f32_dpp v4, v142, v4 row_newbcast:0 row_mask:0xf bank_mask:0xf// 000000009C14: 0A0808FA FF01508E
	v_mul_f32_dpp v5, v142, v5 row_newbcast:1 row_mask:0xf bank_mask:0xf// 000000009C1C: 0A0A0AFA FF01518E
	v_mul_f32_dpp v6, v142, v6 row_newbcast:2 row_mask:0xf bank_mask:0xf// 000000009C24: 0A0C0CFA FF01528E
	v_mul_f32_dpp v7, v142, v7 row_newbcast:3 row_mask:0xf bank_mask:0xf// 000000009C2C: 0A0E0EFA FF01538E
	v_mul_f32_dpp v8, v142, v8 row_newbcast:4 row_mask:0xf bank_mask:0xf// 000000009C34: 0A1010FA FF01548E
	v_mul_f32_dpp v9, v142, v9 row_newbcast:5 row_mask:0xf bank_mask:0xf// 000000009C3C: 0A1212FA FF01558E
	v_mul_f32_dpp v10, v142, v10 row_newbcast:6 row_mask:0xf bank_mask:0xf// 000000009C44: 0A1414FA FF01568E
	v_mul_f32_dpp v11, v142, v11 row_newbcast:7 row_mask:0xf bank_mask:0xf// 000000009C4C: 0A1616FA FF01578E
	v_mul_f32_dpp v12, v142, v12 row_newbcast:8 row_mask:0xf bank_mask:0xf// 000000009C54: 0A1818FA FF01588E
	v_mul_f32_dpp v13, v142, v13 row_newbcast:9 row_mask:0xf bank_mask:0xf// 000000009C5C: 0A1A1AFA FF01598E
	v_mul_f32_dpp v14, v142, v14 row_newbcast:10 row_mask:0xf bank_mask:0xf// 000000009C64: 0A1C1CFA FF015A8E
	v_mul_f32_dpp v15, v142, v15 row_newbcast:11 row_mask:0xf bank_mask:0xf// 000000009C6C: 0A1E1EFA FF015B8E
	v_mul_f32_dpp v16, v142, v16 row_newbcast:12 row_mask:0xf bank_mask:0xf// 000000009C74: 0A2020FA FF015C8E
	v_mul_f32_dpp v17, v142, v17 row_newbcast:13 row_mask:0xf bank_mask:0xf// 000000009C7C: 0A2222FA FF015D8E
	v_mul_f32_dpp v18, v142, v18 row_newbcast:14 row_mask:0xf bank_mask:0xf// 000000009C84: 0A2424FA FF015E8E
	v_mul_f32_dpp v19, v142, v19 row_newbcast:15 row_mask:0xf bank_mask:0xf// 000000009C8C: 0A2626FA FF015F8E
	v_mul_f32_dpp v20, v142, v20 row_newbcast:0 row_mask:0xf bank_mask:0xf// 000000009C94: 0A2828FA FF01508E
	v_mul_f32_dpp v21, v142, v21 row_newbcast:1 row_mask:0xf bank_mask:0xf// 000000009C9C: 0A2A2AFA FF01518E
	v_mul_f32_dpp v22, v142, v22 row_newbcast:2 row_mask:0xf bank_mask:0xf// 000000009CA4: 0A2C2CFA FF01528E
	v_mul_f32_dpp v23, v142, v23 row_newbcast:3 row_mask:0xf bank_mask:0xf// 000000009CAC: 0A2E2EFA FF01538E
	v_mul_f32_dpp v24, v142, v24 row_newbcast:4 row_mask:0xf bank_mask:0xf// 000000009CB4: 0A3030FA FF01548E
	v_mul_f32_dpp v25, v142, v25 row_newbcast:5 row_mask:0xf bank_mask:0xf// 000000009CBC: 0A3232FA FF01558E
	v_mul_f32_dpp v26, v142, v26 row_newbcast:6 row_mask:0xf bank_mask:0xf// 000000009CC4: 0A3434FA FF01568E
	v_mul_f32_dpp v27, v142, v27 row_newbcast:7 row_mask:0xf bank_mask:0xf// 000000009CCC: 0A3636FA FF01578E
	v_mul_f32_dpp v28, v142, v28 row_newbcast:8 row_mask:0xf bank_mask:0xf// 000000009CD4: 0A3838FA FF01588E
	v_mul_f32_dpp v29, v142, v29 row_newbcast:9 row_mask:0xf bank_mask:0xf// 000000009CDC: 0A3A3AFA FF01598E
	v_mul_f32_dpp v30, v142, v30 row_newbcast:10 row_mask:0xf bank_mask:0xf// 000000009CE4: 0A3C3CFA FF015A8E
	v_mul_f32_dpp v31, v142, v31 row_newbcast:11 row_mask:0xf bank_mask:0xf// 000000009CEC: 0A3E3EFA FF015B8E
	v_mul_f32_dpp v32, v142, v32 row_newbcast:12 row_mask:0xf bank_mask:0xf// 000000009CF4: 0A4040FA FF015C8E
	v_mul_f32_dpp v33, v142, v33 row_newbcast:13 row_mask:0xf bank_mask:0xf// 000000009CFC: 0A4242FA FF015D8E
	v_mul_f32_dpp v34, v142, v34 row_newbcast:14 row_mask:0xf bank_mask:0xf// 000000009D04: 0A4444FA FF015E8E
	v_mul_f32_dpp v35, v142, v35 row_newbcast:15 row_mask:0xf bank_mask:0xf// 000000009D0C: 0A4646FA FF015F8E
	v_mul_f32_dpp v36, v142, v36 row_newbcast:0 row_mask:0xf bank_mask:0xf// 000000009D14: 0A4848FA FF01508E
	v_mul_f32_dpp v37, v142, v37 row_newbcast:1 row_mask:0xf bank_mask:0xf// 000000009D1C: 0A4A4AFA FF01518E
	v_mul_f32_dpp v38, v142, v38 row_newbcast:2 row_mask:0xf bank_mask:0xf// 000000009D24: 0A4C4CFA FF01528E
	v_mul_f32_dpp v39, v142, v39 row_newbcast:3 row_mask:0xf bank_mask:0xf// 000000009D2C: 0A4E4EFA FF01538E
	v_mul_f32_dpp v40, v142, v40 row_newbcast:4 row_mask:0xf bank_mask:0xf// 000000009D34: 0A5050FA FF01548E
	v_mul_f32_dpp v41, v142, v41 row_newbcast:5 row_mask:0xf bank_mask:0xf// 000000009D3C: 0A5252FA FF01558E
	v_mul_f32_dpp v42, v142, v42 row_newbcast:6 row_mask:0xf bank_mask:0xf// 000000009D44: 0A5454FA FF01568E
	v_mul_f32_dpp v43, v142, v43 row_newbcast:7 row_mask:0xf bank_mask:0xf// 000000009D4C: 0A5656FA FF01578E
	v_mul_f32_dpp v44, v142, v44 row_newbcast:8 row_mask:0xf bank_mask:0xf// 000000009D54: 0A5858FA FF01588E
	v_mul_f32_dpp v45, v142, v45 row_newbcast:9 row_mask:0xf bank_mask:0xf// 000000009D5C: 0A5A5AFA FF01598E
	v_mul_f32_dpp v46, v142, v46 row_newbcast:10 row_mask:0xf bank_mask:0xf// 000000009D64: 0A5C5CFA FF015A8E
	v_mul_f32_dpp v47, v142, v47 row_newbcast:11 row_mask:0xf bank_mask:0xf// 000000009D6C: 0A5E5EFA FF015B8E
	v_mul_f32_dpp v48, v142, v48 row_newbcast:12 row_mask:0xf bank_mask:0xf// 000000009D74: 0A6060FA FF015C8E
	v_mul_f32_dpp v49, v142, v49 row_newbcast:13 row_mask:0xf bank_mask:0xf// 000000009D7C: 0A6262FA FF015D8E
	v_mul_f32_dpp v50, v142, v50 row_newbcast:14 row_mask:0xf bank_mask:0xf// 000000009D84: 0A6464FA FF015E8E
	v_mul_f32_dpp v51, v142, v51 row_newbcast:15 row_mask:0xf bank_mask:0xf// 000000009D8C: 0A6666FA FF015F8E
	v_mul_f32_dpp v52, v142, v52 row_newbcast:0 row_mask:0xf bank_mask:0xf// 000000009D94: 0A6868FA FF01508E
	v_mul_f32_dpp v53, v142, v53 row_newbcast:1 row_mask:0xf bank_mask:0xf// 000000009D9C: 0A6A6AFA FF01518E
	v_mul_f32_dpp v54, v142, v54 row_newbcast:2 row_mask:0xf bank_mask:0xf// 000000009DA4: 0A6C6CFA FF01528E
	v_mul_f32_dpp v55, v142, v55 row_newbcast:3 row_mask:0xf bank_mask:0xf// 000000009DAC: 0A6E6EFA FF01538E
	v_mul_f32_dpp v56, v142, v56 row_newbcast:4 row_mask:0xf bank_mask:0xf// 000000009DB4: 0A7070FA FF01548E
	v_mul_f32_dpp v57, v142, v57 row_newbcast:5 row_mask:0xf bank_mask:0xf// 000000009DBC: 0A7272FA FF01558E
	v_mul_f32_dpp v58, v142, v58 row_newbcast:6 row_mask:0xf bank_mask:0xf// 000000009DC4: 0A7474FA FF01568E
	v_mul_f32_dpp v59, v142, v59 row_newbcast:7 row_mask:0xf bank_mask:0xf// 000000009DCC: 0A7676FA FF01578E
	v_mul_f32_dpp v60, v142, v60 row_newbcast:8 row_mask:0xf bank_mask:0xf// 000000009DD4: 0A7878FA FF01588E
	v_mul_f32_dpp v61, v142, v61 row_newbcast:9 row_mask:0xf bank_mask:0xf// 000000009DDC: 0A7A7AFA FF01598E
	v_mul_f32_dpp v62, v142, v62 row_newbcast:10 row_mask:0xf bank_mask:0xf// 000000009DE4: 0A7C7CFA FF015A8E
	v_mul_f32_dpp v63, v142, v63 row_newbcast:11 row_mask:0xf bank_mask:0xf// 000000009DEC: 0A7E7EFA FF015B8E
	v_mul_f32_dpp v64, v142, v64 row_newbcast:12 row_mask:0xf bank_mask:0xf// 000000009DF4: 0A8080FA FF015C8E
	v_mul_f32_dpp v65, v142, v65 row_newbcast:13 row_mask:0xf bank_mask:0xf// 000000009DFC: 0A8282FA FF015D8E
	v_mul_f32_dpp v66, v142, v66 row_newbcast:14 row_mask:0xf bank_mask:0xf// 000000009E04: 0A8484FA FF015E8E
	v_mul_f32_dpp v67, v142, v67 row_newbcast:15 row_mask:0xf bank_mask:0xf// 000000009E0C: 0A8686FA FF015F8E
	buffer_load_dword v141, v231, s[20:23], 0 offen            // 000000009E14: E0501000 80058DE7
	s_waitcnt lgkmcnt(0)                                       // 000000009E1C: BF8CC07F
	s_barrier                                                  // 000000009E20: BF8A0000
	buffer_load_dword v143, v232, s[24:27], 0 offen            // 000000009E24: E0501000 80068FE8
	s_waitcnt lgkmcnt(0)                                       // 000000009E2C: BF8CC07F
	v_sub_f32_e32 v176, v176, v152                             // 000000009E30: 056131B0
	v_sub_f32_e32 v177, v177, v153                             // 000000009E34: 056333B1
	v_sub_f32_e32 v178, v178, v154                             // 000000009E38: 056535B2
	v_sub_f32_e32 v179, v179, v155                             // 000000009E3C: 056737B3
	v_mul_f32_e32 v176, s46, v176                              // 000000009E40: 0B61602E
	v_mul_f32_e32 v177, s46, v177                              // 000000009E44: 0B63622E
	v_mul_f32_e32 v178, s46, v178                              // 000000009E48: 0B65642E
	v_mul_f32_e32 v179, s46, v179                              // 000000009E4C: 0B67662E
	v_exp_f32_e32 v176, v176                                   // 000000009E50: 7F6041B0
	v_exp_f32_e32 v177, v177                                   // 000000009E54: 7F6241B1
	v_exp_f32_e32 v178, v178                                   // 000000009E58: 7F6441B2
	v_exp_f32_e32 v179, v179                                   // 000000009E5C: 7F6641B3
	v_mul_f32_e32 v176, v142, v176                             // 000000009E60: 0B61618E
	v_mul_f32_e32 v177, v142, v177                             // 000000009E64: 0B63638E
	v_mul_f32_e32 v178, v142, v178                             // 000000009E68: 0B65658E
	v_mul_f32_e32 v179, v142, v179                             // 000000009E6C: 0B67678E
	v_add_f32_e32 v176, 0x3089705f, v176                       // 000000009E70: 036160FF 3089705F
	v_add_f32_e32 v177, 0x3089705f, v177                       // 000000009E78: 036362FF 3089705F
	v_add_f32_e32 v178, 0x3089705f, v178                       // 000000009E80: 036564FF 3089705F
	v_add_f32_e32 v179, 0x3089705f, v179                       // 000000009E88: 036766FF 3089705F
	v_rcp_f32_e32 v176, v176                                   // 000000009E90: 7F6045B0
	v_rcp_f32_e32 v177, v177                                   // 000000009E94: 7F6245B1
	v_rcp_f32_e32 v178, v178                                   // 000000009E98: 7F6445B2
	v_rcp_f32_e32 v179, v179                                   // 000000009E9C: 7F6645B3
	v_mul_f32_e32 v176, 0x43700000, v176                       // 000000009EA0: 0B6160FF 43700000
	v_mul_f32_e32 v177, 0x43700000, v177                       // 000000009EA8: 0B6362FF 43700000
	v_mul_f32_e32 v178, 0x43700000, v178                       // 000000009EB0: 0B6564FF 43700000
	v_mul_f32_e32 v179, 0x43700000, v179                       // 000000009EB8: 0B6766FF 43700000
	v_mul_f32_e32 v4, v176, v4                                 // 000000009EC0: 0A0809B0
	v_mul_f32_e32 v5, v176, v5                                 // 000000009EC4: 0A0A0BB0
	v_mul_f32_e32 v6, v176, v6                                 // 000000009EC8: 0A0C0DB0
	v_mul_f32_e32 v7, v176, v7                                 // 000000009ECC: 0A0E0FB0
	v_mul_f32_e32 v8, v176, v8                                 // 000000009ED0: 0A1011B0
	v_mul_f32_e32 v9, v176, v9                                 // 000000009ED4: 0A1213B0
	v_mul_f32_e32 v10, v176, v10                               // 000000009ED8: 0A1415B0
	v_mul_f32_e32 v11, v176, v11                               // 000000009EDC: 0A1617B0
	v_mul_f32_e32 v12, v176, v12                               // 000000009EE0: 0A1819B0
	v_mul_f32_e32 v13, v176, v13                               // 000000009EE4: 0A1A1BB0
	v_mul_f32_e32 v14, v176, v14                               // 000000009EE8: 0A1C1DB0
	v_mul_f32_e32 v15, v176, v15                               // 000000009EEC: 0A1E1FB0
	v_mul_f32_e32 v16, v176, v16                               // 000000009EF0: 0A2021B0
	v_mul_f32_e32 v17, v176, v17                               // 000000009EF4: 0A2223B0
	v_mul_f32_e32 v18, v176, v18                               // 000000009EF8: 0A2425B0
	v_mul_f32_e32 v19, v176, v19                               // 000000009EFC: 0A2627B0
	v_mul_f32_e32 v20, v177, v20                               // 000000009F00: 0A2829B1
	v_mul_f32_e32 v21, v177, v21                               // 000000009F04: 0A2A2BB1
	v_mul_f32_e32 v22, v177, v22                               // 000000009F08: 0A2C2DB1
	v_mul_f32_e32 v23, v177, v23                               // 000000009F0C: 0A2E2FB1
	v_mul_f32_e32 v24, v177, v24                               // 000000009F10: 0A3031B1
	v_mul_f32_e32 v25, v177, v25                               // 000000009F14: 0A3233B1
	v_mul_f32_e32 v26, v177, v26                               // 000000009F18: 0A3435B1
	v_mul_f32_e32 v27, v177, v27                               // 000000009F1C: 0A3637B1
	v_mul_f32_e32 v28, v177, v28                               // 000000009F20: 0A3839B1
	v_mul_f32_e32 v29, v177, v29                               // 000000009F24: 0A3A3BB1
	v_mul_f32_e32 v30, v177, v30                               // 000000009F28: 0A3C3DB1
	v_mul_f32_e32 v31, v177, v31                               // 000000009F2C: 0A3E3FB1
	v_mul_f32_e32 v32, v177, v32                               // 000000009F30: 0A4041B1
	v_mul_f32_e32 v33, v177, v33                               // 000000009F34: 0A4243B1
	v_mul_f32_e32 v34, v177, v34                               // 000000009F38: 0A4445B1
	v_mul_f32_e32 v35, v177, v35                               // 000000009F3C: 0A4647B1
	v_mul_f32_e32 v36, v178, v36                               // 000000009F40: 0A4849B2
	v_mul_f32_e32 v37, v178, v37                               // 000000009F44: 0A4A4BB2
	v_mul_f32_e32 v38, v178, v38                               // 000000009F48: 0A4C4DB2
	v_mul_f32_e32 v39, v178, v39                               // 000000009F4C: 0A4E4FB2
	v_mul_f32_e32 v40, v178, v40                               // 000000009F50: 0A5051B2
	v_mul_f32_e32 v41, v178, v41                               // 000000009F54: 0A5253B2
	v_mul_f32_e32 v42, v178, v42                               // 000000009F58: 0A5455B2
	v_mul_f32_e32 v43, v178, v43                               // 000000009F5C: 0A5657B2
	v_mul_f32_e32 v44, v178, v44                               // 000000009F60: 0A5859B2
	v_mul_f32_e32 v45, v178, v45                               // 000000009F64: 0A5A5BB2
	v_mul_f32_e32 v46, v178, v46                               // 000000009F68: 0A5C5DB2
	v_mul_f32_e32 v47, v178, v47                               // 000000009F6C: 0A5E5FB2
	v_mul_f32_e32 v48, v178, v48                               // 000000009F70: 0A6061B2
	v_mul_f32_e32 v49, v178, v49                               // 000000009F74: 0A6263B2
	v_mul_f32_e32 v50, v178, v50                               // 000000009F78: 0A6465B2
	v_mul_f32_e32 v51, v178, v51                               // 000000009F7C: 0A6667B2
	v_mul_f32_e32 v52, v179, v52                               // 000000009F80: 0A6869B3
	v_mul_f32_e32 v53, v179, v53                               // 000000009F84: 0A6A6BB3
	v_mul_f32_e32 v54, v179, v54                               // 000000009F88: 0A6C6DB3
	v_mul_f32_e32 v55, v179, v55                               // 000000009F8C: 0A6E6FB3
	v_mul_f32_e32 v56, v179, v56                               // 000000009F90: 0A7071B3
	v_mul_f32_e32 v57, v179, v57                               // 000000009F94: 0A7273B3
	v_mul_f32_e32 v58, v179, v58                               // 000000009F98: 0A7475B3
	v_mul_f32_e32 v59, v179, v59                               // 000000009F9C: 0A7677B3
	v_mul_f32_e32 v60, v179, v60                               // 000000009FA0: 0A7879B3
	v_mul_f32_e32 v61, v179, v61                               // 000000009FA4: 0A7A7BB3
	v_mul_f32_e32 v62, v179, v62                               // 000000009FA8: 0A7C7DB3
	v_mul_f32_e32 v63, v179, v63                               // 000000009FAC: 0A7E7FB3
	v_mul_f32_e32 v64, v179, v64                               // 000000009FB0: 0A8081B3
	v_mul_f32_e32 v65, v179, v65                               // 000000009FB4: 0A8283B3
	v_mul_f32_e32 v66, v179, v66                               // 000000009FB8: 0A8485B3
	v_mul_f32_e32 v67, v179, v67                               // 000000009FBC: 0A8687B3
	v_cvt_pk_fp8_f32 v4, v4, v5                                // 000000009FC0: D2A20004 00020B04
	v_cvt_pk_fp8_f32 v4, v6, v7 op_sel:[0,0,1]                 // 000000009FC8: D2A24004 00020F06
	v_cvt_pk_fp8_f32 v5, v8, v9                                // 000000009FD0: D2A20005 00021308
	v_cvt_pk_fp8_f32 v5, v10, v11 op_sel:[0,0,1]               // 000000009FD8: D2A24005 0002170A
	v_cvt_pk_fp8_f32 v6, v12, v13                              // 000000009FE0: D2A20006 00021B0C
	v_cvt_pk_fp8_f32 v6, v14, v15 op_sel:[0,0,1]               // 000000009FE8: D2A24006 00021F0E
	v_cvt_pk_fp8_f32 v7, v16, v17                              // 000000009FF0: D2A20007 00022310
	v_cvt_pk_fp8_f32 v7, v18, v19 op_sel:[0,0,1]               // 000000009FF8: D2A24007 00022712
	v_cvt_pk_fp8_f32 v8, v20, v21                              // 00000000A000: D2A20008 00022B14
	v_cvt_pk_fp8_f32 v8, v22, v23 op_sel:[0,0,1]               // 00000000A008: D2A24008 00022F16
	v_cvt_pk_fp8_f32 v9, v24, v25                              // 00000000A010: D2A20009 00023318
	v_cvt_pk_fp8_f32 v9, v26, v27 op_sel:[0,0,1]               // 00000000A018: D2A24009 0002371A
	v_cvt_pk_fp8_f32 v10, v28, v29                             // 00000000A020: D2A2000A 00023B1C
	v_cvt_pk_fp8_f32 v10, v30, v31 op_sel:[0,0,1]              // 00000000A028: D2A2400A 00023F1E
	v_cvt_pk_fp8_f32 v11, v32, v33                             // 00000000A030: D2A2000B 00024320
	v_cvt_pk_fp8_f32 v11, v34, v35 op_sel:[0,0,1]              // 00000000A038: D2A2400B 00024722
	v_cvt_pk_fp8_f32 v12, v36, v37                             // 00000000A040: D2A2000C 00024B24
	v_cvt_pk_fp8_f32 v12, v38, v39 op_sel:[0,0,1]              // 00000000A048: D2A2400C 00024F26
	v_cvt_pk_fp8_f32 v13, v40, v41                             // 00000000A050: D2A2000D 00025328
	v_cvt_pk_fp8_f32 v13, v42, v43 op_sel:[0,0,1]              // 00000000A058: D2A2400D 0002572A
	v_cvt_pk_fp8_f32 v14, v44, v45                             // 00000000A060: D2A2000E 00025B2C
	v_cvt_pk_fp8_f32 v14, v46, v47 op_sel:[0,0,1]              // 00000000A068: D2A2400E 00025F2E
	v_cvt_pk_fp8_f32 v15, v48, v49                             // 00000000A070: D2A2000F 00026330
	v_cvt_pk_fp8_f32 v15, v50, v51 op_sel:[0,0,1]              // 00000000A078: D2A2400F 00026732
	v_cvt_pk_fp8_f32 v16, v52, v53                             // 00000000A080: D2A20010 00026B34
	v_cvt_pk_fp8_f32 v16, v54, v55 op_sel:[0,0,1]              // 00000000A088: D2A24010 00026F36
	v_cvt_pk_fp8_f32 v17, v56, v57                             // 00000000A090: D2A20011 00027338
	v_cvt_pk_fp8_f32 v17, v58, v59 op_sel:[0,0,1]              // 00000000A098: D2A24011 0002773A
	v_cvt_pk_fp8_f32 v18, v60, v61                             // 00000000A0A0: D2A20012 00027B3C
	v_cvt_pk_fp8_f32 v18, v62, v63 op_sel:[0,0,1]              // 00000000A0A8: D2A24012 00027F3E
	v_cvt_pk_fp8_f32 v19, v64, v65                             // 00000000A0B0: D2A20013 00028340
	v_cvt_pk_fp8_f32 v19, v66, v67 op_sel:[0,0,1]              // 00000000A0B8: D2A24013 00028742
	ds_write_b32 v249, v4 offset:8192                          // 00000000A0C0: D81A2000 000004F9
	ds_write_b32 v249, v5 offset:9216                          // 00000000A0C8: D81A2400 000005F9
	ds_write_b32 v249, v6 offset:10240                         // 00000000A0D0: D81A2800 000006F9
	ds_write_b32 v249, v7 offset:11264                         // 00000000A0D8: D81A2C00 000007F9
	ds_write_b32 v249, v8 offset:12288                         // 00000000A0E0: D81A3000 000008F9
	ds_write_b32 v249, v9 offset:13312                         // 00000000A0E8: D81A3400 000009F9
	ds_write_b32 v249, v10 offset:14336                        // 00000000A0F0: D81A3800 00000AF9
	ds_write_b32 v249, v11 offset:15360                        // 00000000A0F8: D81A3C00 00000BF9
	ds_write_b32 v249, v12 offset:16384                        // 00000000A100: D81A4000 00000CF9
	ds_write_b32 v249, v13 offset:17408                        // 00000000A108: D81A4400 00000DF9
	ds_write_b32 v249, v14 offset:18432                        // 00000000A110: D81A4800 00000EF9
	ds_write_b32 v249, v15 offset:19456                        // 00000000A118: D81A4C00 00000FF9
	ds_write_b32 v249, v16 offset:20480                        // 00000000A120: D81A5000 000010F9
	ds_write_b32 v249, v17 offset:21504                        // 00000000A128: D81A5400 000011F9
	ds_write_b32 v249, v18 offset:22528                        // 00000000A130: D81A5800 000012F9
	ds_write_b32 v249, v19 offset:23552                        // 00000000A138: D81A5C00 000013F9
	v_rcp_f32_e32 v144, v176                                   // 00000000A140: 7F2045B0
	v_rcp_f32_e32 v146, v177                                   // 00000000A144: 7F2445B1
	v_rcp_f32_e32 v148, v178                                   // 00000000A148: 7F2845B2
	v_rcp_f32_e32 v150, v179                                   // 00000000A14C: 7F2C45B3
	v_mov_b32_e32 v145, v144                                   // 00000000A150: 7F220390
	v_mov_b32_e32 v147, v146                                   // 00000000A154: 7F260392
	v_mov_b32_e32 v149, v148                                   // 00000000A158: 7F2A0394
	v_mov_b32_e32 v151, v150                                   // 00000000A15C: 7F2E0396
	v_pk_add_f32 v[100:101], v[100:101], v[68:69]              // 00000000A160: D3B24064 18028964
	v_pk_add_f32 v[102:103], v[102:103], v[70:71]              // 00000000A168: D3B24066 18028D66
	v_pk_add_f32 v[104:105], v[104:105], v[72:73]              // 00000000A170: D3B24068 18029168
	v_pk_add_f32 v[106:107], v[106:107], v[74:75]              // 00000000A178: D3B2406A 1802956A
	v_pk_add_f32 v[108:109], v[108:109], v[76:77]              // 00000000A180: D3B2406C 1802996C
	v_pk_add_f32 v[110:111], v[110:111], v[78:79]              // 00000000A188: D3B2406E 18029D6E
	v_pk_add_f32 v[112:113], v[112:113], v[80:81]              // 00000000A190: D3B24070 1802A170
	v_pk_add_f32 v[114:115], v[114:115], v[82:83]              // 00000000A198: D3B24072 1802A572
	v_pk_add_f32 v[116:117], v[116:117], v[84:85]              // 00000000A1A0: D3B24074 1802A974
	v_pk_add_f32 v[118:119], v[118:119], v[86:87]              // 00000000A1A8: D3B24076 1802AD76
	v_pk_add_f32 v[120:121], v[120:121], v[88:89]              // 00000000A1B0: D3B24078 1802B178
	v_pk_add_f32 v[122:123], v[122:123], v[90:91]              // 00000000A1B8: D3B2407A 1802B57A
	v_pk_add_f32 v[124:125], v[124:125], v[92:93]              // 00000000A1C0: D3B2407C 1802B97C
	v_pk_add_f32 v[126:127], v[126:127], v[94:95]              // 00000000A1C8: D3B2407E 1802BD7E
	v_pk_add_f32 v[128:129], v[128:129], v[96:97]              // 00000000A1D0: D3B24080 1802C180
	v_pk_add_f32 v[130:131], v[130:131], v[98:99]              // 00000000A1D8: D3B24082 1802C582
	s_waitcnt lgkmcnt(0)                                       // 00000000A1E0: BF8CC07F
	s_barrier                                                  // 00000000A1E4: BF8A0000
	ds_read_b128 v[4:7], v250 offset:8192                      // 00000000A1E8: D9FE2000 040000FA
	ds_read_b128 v[8:11], v250 offset:9216                     // 00000000A1F0: D9FE2400 080000FA
	ds_read_b128 v[12:15], v250 offset:10240                   // 00000000A1F8: D9FE2800 0C0000FA
	ds_read_b128 v[16:19], v250 offset:11264                   // 00000000A200: D9FE2C00 100000FA
	ds_read_b128 v[20:23], v250 offset:12288                   // 00000000A208: D9FE3000 140000FA
	ds_read_b128 v[24:27], v250 offset:13312                   // 00000000A210: D9FE3400 180000FA
	ds_read_b128 v[28:31], v250 offset:14336                   // 00000000A218: D9FE3800 1C0000FA
	ds_read_b128 v[32:35], v250 offset:15360                   // 00000000A220: D9FE3C00 200000FA
	ds_read_b128 v[36:39], v250 offset:16384                   // 00000000A228: D9FE4000 240000FA
	ds_read_b128 v[40:43], v250 offset:17408                   // 00000000A230: D9FE4400 280000FA
	ds_read_b128 v[44:47], v250 offset:18432                   // 00000000A238: D9FE4800 2C0000FA
	ds_read_b128 v[48:51], v250 offset:19456                   // 00000000A240: D9FE4C00 300000FA
	ds_read_b128 v[52:55], v250 offset:20480                   // 00000000A248: D9FE5000 340000FA
	ds_read_b128 v[56:59], v250 offset:21504                   // 00000000A250: D9FE5400 380000FA
	ds_read_b128 v[60:63], v250 offset:22528                   // 00000000A258: D9FE5800 3C0000FA
	ds_read_b128 v[64:67], v250 offset:23552                   // 00000000A260: D9FE5C00 400000FA
	s_waitcnt vmcnt(10)                                        // 00000000A268: BF8C0F7A
	s_waitcnt vmcnt(63) expcnt(7) lgkmcnt(15)                  // 00000000A26C: BF8CCF7F
	v_mfma_f32_16x16x32_fp8_fp8 v[68:71], a[96:97], v[4:5], 0  // 00000000A270: D3F30044 0A020960
	s_lshl_b32 s68, s76, 2                                     // 00000000A278: 8E44824C
	v_mfma_f32_16x16x32_fp8_fp8 v[72:75], a[112:113], v[4:5], 0// 00000000A27C: D3F30048 0A020970
	s_cmp_lt_u32 s76, s77                                      // 00000000A284: BF0A4D4C
	s_cselect_b32 s68, s68, 0                                  // 00000000A288: 85448044
	v_mfma_f32_16x16x32_fp8_fp8 v[68:71], a[98:99], v[6:7], v[68:71]// 00000000A28C: D3F30044 0D120D62
	buffer_load_dwordx4 a[128:131], v227, s[16:19], 0 offen    // 00000000A294: E05C1000 808480E3
	v_mfma_f32_16x16x32_fp8_fp8 v[72:75], a[114:115], v[6:7], v[72:75]// 00000000A29C: D3F30048 0D220D72
	s_addk_i32 s76, 0x1                                        // 00000000A2A4: B74C0001
	s_waitcnt lgkmcnt(14)                                      // 00000000A2A8: BF8CCE7F
	v_mfma_f32_16x16x32_fp8_fp8 v[68:71], a[100:101], v[8:9], v[68:71]// 00000000A2AC: D3F30044 0D121164
	v_mfma_f32_16x16x32_fp8_fp8 v[72:75], a[116:117], v[8:9], v[72:75]// 00000000A2B4: D3F30048 0D221174
	v_mfma_f32_16x16x32_fp8_fp8 v[68:71], a[102:103], v[10:11], v[68:71]// 00000000A2BC: D3F30044 0D121566
	buffer_load_dwordx4 a[132:135], v228, s[16:19], 0 offen    // 00000000A2C4: E05C1000 808484E4
	v_mfma_f32_16x16x32_fp8_fp8 v[72:75], a[118:119], v[10:11], v[72:75]// 00000000A2CC: D3F30048 0D221576
	s_waitcnt lgkmcnt(13)                                      // 00000000A2D4: BF8CCD7F
	v_mfma_f32_16x16x32_fp8_fp8 v[68:71], a[104:105], v[12:13], v[68:71]// 00000000A2D8: D3F30044 0D121968
	v_mfma_f32_16x16x32_fp8_fp8 v[72:75], a[120:121], v[12:13], v[72:75]// 00000000A2E0: D3F30048 0D221978
	v_mfma_f32_16x16x32_fp8_fp8 v[68:71], a[106:107], v[14:15], v[68:71]// 00000000A2E8: D3F30044 0D121D6A
	buffer_load_dwordx4 a[136:139], v229, s[16:19], 0 offen    // 00000000A2F0: E05C1000 808488E5
	v_mfma_f32_16x16x32_fp8_fp8 v[72:75], a[122:123], v[14:15], v[72:75]// 00000000A2F8: D3F30048 0D221D7A
	s_waitcnt lgkmcnt(12)                                      // 00000000A300: BF8CCC7F
	v_mfma_f32_16x16x32_fp8_fp8 v[68:71], a[108:109], v[16:17], v[68:71]// 00000000A304: D3F30044 0D12216C
	v_mfma_f32_16x16x32_fp8_fp8 v[72:75], a[124:125], v[16:17], v[72:75]// 00000000A30C: D3F30048 0D22217C
	v_mfma_f32_16x16x32_fp8_fp8 v[68:71], a[110:111], v[18:19], v[68:71]// 00000000A314: D3F30044 0D12256E
	buffer_load_dwordx4 a[140:143], v230, s[16:19], 0 offen    // 00000000A31C: E05C1000 80848CE6
	v_mfma_f32_16x16x32_fp8_fp8 v[72:75], a[126:127], v[18:19], v[72:75]// 00000000A324: D3F30048 0D22257E
	s_waitcnt lgkmcnt(11)                                      // 00000000A32C: BF8CCB7F
	v_mfma_f32_16x16x32_fp8_fp8 v[76:79], a[96:97], v[20:21], 0// 00000000A330: D3F3004C 0A022960
	v_mfma_f32_16x16x32_fp8_fp8 v[80:83], a[112:113], v[20:21], 0// 00000000A338: D3F30050 0A022970
	v_mfma_f32_16x16x32_fp8_fp8 v[76:79], a[98:99], v[22:23], v[76:79]// 00000000A340: D3F3004C 0D322D62
	buffer_load_dwordx4 a[144:147], v227, s[16:19], 0 offen offset:1024// 00000000A348: E05C1400 808490E3
	v_mfma_f32_16x16x32_fp8_fp8 v[80:83], a[114:115], v[22:23], v[80:83]// 00000000A350: D3F30050 0D422D72
	s_waitcnt lgkmcnt(10)                                      // 00000000A358: BF8CCA7F
	v_mfma_f32_16x16x32_fp8_fp8 v[76:79], a[100:101], v[24:25], v[76:79]// 00000000A35C: D3F3004C 0D323164
	v_mfma_f32_16x16x32_fp8_fp8 v[80:83], a[116:117], v[24:25], v[80:83]// 00000000A364: D3F30050 0D423174
	v_mfma_f32_16x16x32_fp8_fp8 v[76:79], a[102:103], v[26:27], v[76:79]// 00000000A36C: D3F3004C 0D323566
	buffer_load_dwordx4 a[148:151], v228, s[16:19], 0 offen offset:1024// 00000000A374: E05C1400 808494E4
	v_mfma_f32_16x16x32_fp8_fp8 v[80:83], a[118:119], v[26:27], v[80:83]// 00000000A37C: D3F30050 0D423576
	s_waitcnt lgkmcnt(9)                                       // 00000000A384: BF8CC97F
	v_mfma_f32_16x16x32_fp8_fp8 v[76:79], a[104:105], v[28:29], v[76:79]// 00000000A388: D3F3004C 0D323968
	v_mfma_f32_16x16x32_fp8_fp8 v[80:83], a[120:121], v[28:29], v[80:83]// 00000000A390: D3F30050 0D423978
	v_mfma_f32_16x16x32_fp8_fp8 v[76:79], a[106:107], v[30:31], v[76:79]// 00000000A398: D3F3004C 0D323D6A
	buffer_load_dwordx4 a[152:155], v229, s[16:19], 0 offen offset:1024// 00000000A3A0: E05C1400 808498E5
	v_mfma_f32_16x16x32_fp8_fp8 v[80:83], a[122:123], v[30:31], v[80:83]// 00000000A3A8: D3F30050 0D423D7A
	s_waitcnt lgkmcnt(8)                                       // 00000000A3B0: BF8CC87F
	v_mfma_f32_16x16x32_fp8_fp8 v[76:79], a[108:109], v[32:33], v[76:79]// 00000000A3B4: D3F3004C 0D32416C
	v_mfma_f32_16x16x32_fp8_fp8 v[80:83], a[124:125], v[32:33], v[80:83]// 00000000A3BC: D3F30050 0D42417C
	v_mfma_f32_16x16x32_fp8_fp8 v[76:79], a[110:111], v[34:35], v[76:79]// 00000000A3C4: D3F3004C 0D32456E
	buffer_load_dwordx4 a[156:159], v230, s[16:19], 0 offen offset:1024// 00000000A3CC: E05C1400 80849CE6
	v_mfma_f32_16x16x32_fp8_fp8 v[80:83], a[126:127], v[34:35], v[80:83]// 00000000A3D4: D3F30050 0D42457E
	s_waitcnt lgkmcnt(7)                                       // 00000000A3DC: BF8CC77F
	v_mfma_f32_16x16x32_fp8_fp8 v[84:87], a[96:97], v[36:37], 0// 00000000A3E0: D3F30054 0A024960
	v_mfma_f32_16x16x32_fp8_fp8 v[88:91], a[112:113], v[36:37], 0// 00000000A3E8: D3F30058 0A024970
	v_mfma_f32_16x16x32_fp8_fp8 v[84:87], a[98:99], v[38:39], v[84:87]// 00000000A3F0: D3F30054 0D524D62
	v_mfma_f32_16x16x32_fp8_fp8 v[88:91], a[114:115], v[38:39], v[88:91]// 00000000A3F8: D3F30058 0D624D72
	s_waitcnt lgkmcnt(6)                                       // 00000000A400: BF8CC67F
	v_mfma_f32_16x16x32_fp8_fp8 v[84:87], a[100:101], v[40:41], v[84:87]// 00000000A404: D3F30054 0D525164
	v_mfma_f32_16x16x32_fp8_fp8 v[88:91], a[116:117], v[40:41], v[88:91]// 00000000A40C: D3F30058 0D625174
	v_mfma_f32_16x16x32_fp8_fp8 v[84:87], a[102:103], v[42:43], v[84:87]// 00000000A414: D3F30054 0D525566
	v_mfma_f32_16x16x32_fp8_fp8 v[88:91], a[118:119], v[42:43], v[88:91]// 00000000A41C: D3F30058 0D625576
	s_waitcnt lgkmcnt(5)                                       // 00000000A424: BF8CC57F
	v_mfma_f32_16x16x32_fp8_fp8 v[84:87], a[104:105], v[44:45], v[84:87]// 00000000A428: D3F30054 0D525968
	v_mfma_f32_16x16x32_fp8_fp8 v[88:91], a[120:121], v[44:45], v[88:91]// 00000000A430: D3F30058 0D625978
	v_mfma_f32_16x16x32_fp8_fp8 v[84:87], a[106:107], v[46:47], v[84:87]// 00000000A438: D3F30054 0D525D6A
	v_mfma_f32_16x16x32_fp8_fp8 v[88:91], a[122:123], v[46:47], v[88:91]// 00000000A440: D3F30058 0D625D7A
	s_waitcnt lgkmcnt(4)                                       // 00000000A448: BF8CC47F
	v_mfma_f32_16x16x32_fp8_fp8 v[84:87], a[108:109], v[48:49], v[84:87]// 00000000A44C: D3F30054 0D52616C
	v_mfma_f32_16x16x32_fp8_fp8 v[88:91], a[124:125], v[48:49], v[88:91]// 00000000A454: D3F30058 0D62617C
	v_mfma_f32_16x16x32_fp8_fp8 v[84:87], a[110:111], v[50:51], v[84:87]// 00000000A45C: D3F30054 0D52656E
	v_mfma_f32_16x16x32_fp8_fp8 v[88:91], a[126:127], v[50:51], v[88:91]// 00000000A464: D3F30058 0D62657E
	s_waitcnt lgkmcnt(3)                                       // 00000000A46C: BF8CC37F
	v_mfma_f32_16x16x32_fp8_fp8 v[92:95], a[96:97], v[52:53], 0// 00000000A470: D3F3005C 0A026960
	v_mfma_f32_16x16x32_fp8_fp8 v[96:99], a[112:113], v[52:53], 0// 00000000A478: D3F30060 0A026970
	v_mfma_f32_16x16x32_fp8_fp8 v[92:95], a[98:99], v[54:55], v[92:95]// 00000000A480: D3F3005C 0D726D62
	v_mfma_f32_16x16x32_fp8_fp8 v[96:99], a[114:115], v[54:55], v[96:99]// 00000000A488: D3F30060 0D826D72
	s_waitcnt lgkmcnt(2)                                       // 00000000A490: BF8CC27F
	v_mfma_f32_16x16x32_fp8_fp8 v[92:95], a[100:101], v[56:57], v[92:95]// 00000000A494: D3F3005C 0D727164
	v_mfma_f32_16x16x32_fp8_fp8 v[96:99], a[116:117], v[56:57], v[96:99]// 00000000A49C: D3F30060 0D827174
	v_mfma_f32_16x16x32_fp8_fp8 v[92:95], a[102:103], v[58:59], v[92:95]// 00000000A4A4: D3F3005C 0D727566
	v_mfma_f32_16x16x32_fp8_fp8 v[96:99], a[118:119], v[58:59], v[96:99]// 00000000A4AC: D3F30060 0D827576
	s_waitcnt lgkmcnt(1)                                       // 00000000A4B4: BF8CC17F
	v_mfma_f32_16x16x32_fp8_fp8 v[92:95], a[104:105], v[60:61], v[92:95]// 00000000A4B8: D3F3005C 0D727968
	v_mfma_f32_16x16x32_fp8_fp8 v[96:99], a[120:121], v[60:61], v[96:99]// 00000000A4C0: D3F30060 0D827978
	v_mfma_f32_16x16x32_fp8_fp8 v[92:95], a[106:107], v[62:63], v[92:95]// 00000000A4C8: D3F3005C 0D727D6A
	v_mfma_f32_16x16x32_fp8_fp8 v[96:99], a[122:123], v[62:63], v[96:99]// 00000000A4D0: D3F30060 0D827D7A
	s_waitcnt lgkmcnt(0)                                       // 00000000A4D8: BF8CC07F
	v_mfma_f32_16x16x32_fp8_fp8 v[92:95], a[108:109], v[64:65], v[92:95]// 00000000A4DC: D3F3005C 0D72816C
	v_mfma_f32_16x16x32_fp8_fp8 v[96:99], a[124:125], v[64:65], v[96:99]// 00000000A4E4: D3F30060 0D82817C
	v_mfma_f32_16x16x32_fp8_fp8 v[92:95], a[110:111], v[66:67], v[92:95]// 00000000A4EC: D3F3005C 0D72856E
	v_mfma_f32_16x16x32_fp8_fp8 v[96:99], a[126:127], v[66:67], v[96:99]// 00000000A4F4: D3F30060 0D82857E
	s_load_dword s59, s[42:43], s68                            // 00000000A4FC: C0000ED5 00000044
	s_addk_i32 s64, 0x100                                      // 00000000A504: B7400100
	s_cmp_lt_i32 s64, s63                                      // 00000000A508: BF043F40
	s_cbranch_scc0 label_38F6                                  // 00000000A50C: BF841932
	s_waitcnt vmcnt(10)                                        // 00000000A510: BF8C0F7A
	v_mfma_f32_16x16x32_fp8_fp8 v[4:7], a[64:65], a[0:1], 0    // 00000000A514: D3F30004 1A020140
	s_add_u32 s12, s86, s69                                    // 00000000A51C: 800C4556
	s_addc_u32 s13, s87, 0                                     // 00000000A520: 820D8057
	v_mfma_f32_16x16x32_fp8_fp8 v[4:7], a[66:67], a[2:3], v[4:7]// 00000000A524: D3F30004 1C120542
	s_add_u32 s16, s88, s70                                    // 00000000A52C: 80104658
	s_addc_u32 s17, s89, 0                                     // 00000000A530: 82118059
	v_mfma_f32_16x16x32_fp8_fp8 v[4:7], a[68:69], a[4:5], v[4:7]// 00000000A534: D3F30004 1C120944
	buffer_load_dwordx4 a[32:35], v225, s[12:15], 0 offen      // 00000000A53C: E05C1000 808320E1
	v_mfma_f32_16x16x32_fp8_fp8 v[4:7], a[70:71], a[6:7], v[4:7]// 00000000A544: D3F30004 1C120D46
	s_add_u32 s20, s90, s71                                    // 00000000A54C: 8014475A
	s_addc_u32 s21, s91, 0                                     // 00000000A550: 8215805B
	v_mfma_f32_16x16x32_fp8_fp8 v[8:11], a[72:73], a[0:1], 0   // 00000000A554: D3F30008 1A020148
	s_add_u32 s24, s92, s71                                    // 00000000A55C: 8018475C
	s_addc_u32 s25, s93, 0                                     // 00000000A560: 8219805D
	v_mfma_f32_16x16x32_fp8_fp8 v[8:11], a[74:75], a[2:3], v[8:11]// 00000000A564: D3F30008 1C22054A
	s_add_u32 s69, s69, 0x1000                                 // 00000000A56C: 8045FF45 00001000
	s_add_u32 s70, s70, 0x8000                                 // 00000000A574: 8046FF46 00008000
	v_mfma_f32_16x16x32_fp8_fp8 v[8:11], a[76:77], a[4:5], v[8:11]// 00000000A57C: D3F30008 1C22094C
	buffer_load_dwordx4 a[36:39], v226, s[12:15], 0 offen      // 00000000A584: E05C1000 808324E2
	v_mfma_f32_16x16x32_fp8_fp8 v[8:11], a[78:79], a[6:7], v[8:11]// 00000000A58C: D3F30008 1C220D4E
	v_mfma_f32_16x16x32_fp8_fp8 v[12:15], a[80:81], a[0:1], 0  // 00000000A594: D3F3000C 1A020150
	v_mfma_f32_16x16x32_fp8_fp8 v[12:15], a[82:83], a[2:3], v[12:15]// 00000000A59C: D3F3000C 1C320552
	v_mfma_f32_16x16x32_fp8_fp8 v[12:15], a[84:85], a[4:5], v[12:15]// 00000000A5A4: D3F3000C 1C320954
	buffer_load_dwordx4 a[40:43], v225, s[12:15], 0 offen offset:1024// 00000000A5AC: E05C1400 808328E1
	v_mfma_f32_16x16x32_fp8_fp8 v[12:15], a[86:87], a[6:7], v[12:15]// 00000000A5B4: D3F3000C 1C320D56
	v_mfma_f32_16x16x32_fp8_fp8 v[16:19], a[88:89], a[0:1], 0  // 00000000A5BC: D3F30010 1A020158
	v_mfma_f32_16x16x32_fp8_fp8 v[16:19], a[90:91], a[2:3], v[16:19]// 00000000A5C4: D3F30010 1C42055A
	v_mfma_f32_16x16x32_fp8_fp8 v[16:19], a[92:93], a[4:5], v[16:19]// 00000000A5CC: D3F30010 1C42095C
	buffer_load_dwordx4 a[44:47], v226, s[12:15], 0 offen offset:1024// 00000000A5D4: E05C1400 80832CE2
	v_mfma_f32_16x16x32_fp8_fp8 v[16:19], a[94:95], a[6:7], v[16:19]// 00000000A5DC: D3F30010 1C420D5E
	v_mfma_f32_16x16x32_fp8_fp8 v[20:23], a[64:65], a[8:9], 0  // 00000000A5E4: D3F30014 1A021140
	v_mfma_f32_16x16x32_fp8_fp8 v[20:23], a[66:67], a[10:11], v[20:23]// 00000000A5EC: D3F30014 1C521542
	v_mfma_f32_16x16x32_fp8_fp8 v[20:23], a[68:69], a[12:13], v[20:23]// 00000000A5F4: D3F30014 1C521944
	buffer_load_dwordx4 a[48:51], v225, s[12:15], 0 offen offset:2048// 00000000A5FC: E05C1800 808330E1
	v_mfma_f32_16x16x32_fp8_fp8 v[20:23], a[70:71], a[14:15], v[20:23]// 00000000A604: D3F30014 1C521D46
	v_mfma_f32_16x16x32_fp8_fp8 v[24:27], a[72:73], a[8:9], 0  // 00000000A60C: D3F30018 1A021148
	v_mfma_f32_16x16x32_fp8_fp8 v[24:27], a[74:75], a[10:11], v[24:27]// 00000000A614: D3F30018 1C62154A
	v_mfma_f32_16x16x32_fp8_fp8 v[24:27], a[76:77], a[12:13], v[24:27]// 00000000A61C: D3F30018 1C62194C
	buffer_load_dwordx4 a[52:55], v226, s[12:15], 0 offen offset:2048// 00000000A624: E05C1800 808334E2
	v_mfma_f32_16x16x32_fp8_fp8 v[24:27], a[78:79], a[14:15], v[24:27]// 00000000A62C: D3F30018 1C621D4E
	v_mfma_f32_16x16x32_fp8_fp8 v[28:31], a[80:81], a[8:9], 0  // 00000000A634: D3F3001C 1A021150
	v_mfma_f32_16x16x32_fp8_fp8 v[28:31], a[82:83], a[10:11], v[28:31]// 00000000A63C: D3F3001C 1C721552
	v_mfma_f32_16x16x32_fp8_fp8 v[28:31], a[84:85], a[12:13], v[28:31]// 00000000A644: D3F3001C 1C721954
	buffer_load_dwordx4 a[56:59], v225, s[12:15], 0 offen offset:3072// 00000000A64C: E05C1C00 808338E1
	v_mfma_f32_16x16x32_fp8_fp8 v[28:31], a[86:87], a[14:15], v[28:31]// 00000000A654: D3F3001C 1C721D56
	v_mfma_f32_16x16x32_fp8_fp8 v[32:35], a[88:89], a[8:9], 0  // 00000000A65C: D3F30020 1A021158
	v_mfma_f32_16x16x32_fp8_fp8 v[32:35], a[90:91], a[10:11], v[32:35]// 00000000A664: D3F30020 1C82155A
	v_mfma_f32_16x16x32_fp8_fp8 v[32:35], a[92:93], a[12:13], v[32:35]// 00000000A66C: D3F30020 1C82195C
	buffer_load_dwordx4 a[60:63], v226, s[12:15], 0 offen offset:3072// 00000000A674: E05C1C00 80833CE2
	v_mfma_f32_16x16x32_fp8_fp8 v[32:35], a[94:95], a[14:15], v[32:35]// 00000000A67C: D3F30020 1C821D5E
	v_mfma_f32_16x16x32_fp8_fp8 v[36:39], a[64:65], a[16:17], 0// 00000000A684: D3F30024 1A022140
	v_mfma_f32_16x16x32_fp8_fp8 v[36:39], a[66:67], a[18:19], v[36:39]// 00000000A68C: D3F30024 1C922542
	v_mfma_f32_16x16x32_fp8_fp8 v[36:39], a[68:69], a[20:21], v[36:39]// 00000000A694: D3F30024 1C922944
	v_mfma_f32_16x16x32_fp8_fp8 v[36:39], a[70:71], a[22:23], v[36:39]// 00000000A69C: D3F30024 1C922D46
	v_mfma_f32_16x16x32_fp8_fp8 v[40:43], a[72:73], a[16:17], 0// 00000000A6A4: D3F30028 1A022148
	v_mfma_f32_16x16x32_fp8_fp8 v[40:43], a[74:75], a[18:19], v[40:43]// 00000000A6AC: D3F30028 1CA2254A
	v_mfma_f32_16x16x32_fp8_fp8 v[40:43], a[76:77], a[20:21], v[40:43]// 00000000A6B4: D3F30028 1CA2294C
	v_mfma_f32_16x16x32_fp8_fp8 v[40:43], a[78:79], a[22:23], v[40:43]// 00000000A6BC: D3F30028 1CA22D4E
	v_mfma_f32_16x16x32_fp8_fp8 v[44:47], a[80:81], a[16:17], 0// 00000000A6C4: D3F3002C 1A022150
	v_mfma_f32_16x16x32_fp8_fp8 v[44:47], a[82:83], a[18:19], v[44:47]// 00000000A6CC: D3F3002C 1CB22552
	v_mfma_f32_16x16x32_fp8_fp8 v[44:47], a[84:85], a[20:21], v[44:47]// 00000000A6D4: D3F3002C 1CB22954
	v_mfma_f32_16x16x32_fp8_fp8 v[44:47], a[86:87], a[22:23], v[44:47]// 00000000A6DC: D3F3002C 1CB22D56
	v_mfma_f32_16x16x32_fp8_fp8 v[48:51], a[88:89], a[16:17], 0// 00000000A6E4: D3F30030 1A022158
	v_mfma_f32_16x16x32_fp8_fp8 v[48:51], a[90:91], a[18:19], v[48:51]// 00000000A6EC: D3F30030 1CC2255A
	v_mfma_f32_16x16x32_fp8_fp8 v[48:51], a[92:93], a[20:21], v[48:51]// 00000000A6F4: D3F30030 1CC2295C
	v_mfma_f32_16x16x32_fp8_fp8 v[48:51], a[94:95], a[22:23], v[48:51]// 00000000A6FC: D3F30030 1CC22D5E
	v_mfma_f32_16x16x32_fp8_fp8 v[52:55], a[64:65], a[24:25], 0// 00000000A704: D3F30034 1A023140
	v_mfma_f32_16x16x32_fp8_fp8 v[52:55], a[66:67], a[26:27], v[52:55]// 00000000A70C: D3F30034 1CD23542
	v_mfma_f32_16x16x32_fp8_fp8 v[52:55], a[68:69], a[28:29], v[52:55]// 00000000A714: D3F30034 1CD23944
	v_mfma_f32_16x16x32_fp8_fp8 v[52:55], a[70:71], a[30:31], v[52:55]// 00000000A71C: D3F30034 1CD23D46
	v_mfma_f32_16x16x32_fp8_fp8 v[56:59], a[72:73], a[24:25], 0// 00000000A724: D3F30038 1A023148
	v_mfma_f32_16x16x32_fp8_fp8 v[56:59], a[74:75], a[26:27], v[56:59]// 00000000A72C: D3F30038 1CE2354A
	v_mfma_f32_16x16x32_fp8_fp8 v[56:59], a[76:77], a[28:29], v[56:59]// 00000000A734: D3F30038 1CE2394C
	v_mfma_f32_16x16x32_fp8_fp8 v[56:59], a[78:79], a[30:31], v[56:59]// 00000000A73C: D3F30038 1CE23D4E
	v_mfma_f32_16x16x32_fp8_fp8 v[60:63], a[80:81], a[24:25], 0// 00000000A744: D3F3003C 1A023150
	v_mfma_f32_16x16x32_fp8_fp8 v[60:63], a[82:83], a[26:27], v[60:63]// 00000000A74C: D3F3003C 1CF23552
	v_mfma_f32_16x16x32_fp8_fp8 v[60:63], a[84:85], a[28:29], v[60:63]// 00000000A754: D3F3003C 1CF23954
	v_mfma_f32_16x16x32_fp8_fp8 v[60:63], a[86:87], a[30:31], v[60:63]// 00000000A75C: D3F3003C 1CF23D56
	v_mfma_f32_16x16x32_fp8_fp8 v[64:67], a[88:89], a[24:25], 0// 00000000A764: D3F30040 1A023158
	v_mfma_f32_16x16x32_fp8_fp8 v[64:67], a[90:91], a[26:27], v[64:67]// 00000000A76C: D3F30040 1D02355A
	v_mfma_f32_16x16x32_fp8_fp8 v[64:67], a[92:93], a[28:29], v[64:67]// 00000000A774: D3F30040 1D02395C
	v_mfma_f32_16x16x32_fp8_fp8 v[64:67], a[94:95], a[30:31], v[64:67]// 00000000A77C: D3F30040 1D023D5E
	s_waitcnt vmcnt(16)                                        // 00000000A784: BF8C4F70
	v_pk_mul_f32 v[4:5], v[132:133], v[4:5]                    // 00000000A788: D3B14004 18020984
	v_pk_mul_f32 v[6:7], v[132:133], v[6:7]                    // 00000000A790: D3B14006 18020D84
	v_mul_f32_dpp v4, v141, v4 row_newbcast:0 row_mask:0xf bank_mask:0xf// 00000000A798: 0A0808FA FF01508D
	v_mul_f32_dpp v5, v141, v5 row_newbcast:1 row_mask:0xf bank_mask:0xf// 00000000A7A0: 0A0A0AFA FF01518D
	v_mul_f32_dpp v6, v141, v6 row_newbcast:2 row_mask:0xf bank_mask:0xf// 00000000A7A8: 0A0C0CFA FF01528D
	v_mul_f32_dpp v7, v141, v7 row_newbcast:3 row_mask:0xf bank_mask:0xf// 00000000A7B0: 0A0E0EFA FF01538D
	v_pk_mul_f32 v[8:9], v[132:133], v[8:9]                    // 00000000A7B8: D3B14008 18021184
	v_pk_mul_f32 v[10:11], v[132:133], v[10:11]                // 00000000A7C0: D3B1400A 18021584
	v_mul_f32_dpp v8, v141, v8 row_newbcast:4 row_mask:0xf bank_mask:0xf// 00000000A7C8: 0A1010FA FF01548D
	v_mul_f32_dpp v9, v141, v9 row_newbcast:5 row_mask:0xf bank_mask:0xf// 00000000A7D0: 0A1212FA FF01558D
	v_mul_f32_dpp v10, v141, v10 row_newbcast:6 row_mask:0xf bank_mask:0xf// 00000000A7D8: 0A1414FA FF01568D
	v_mul_f32_dpp v11, v141, v11 row_newbcast:7 row_mask:0xf bank_mask:0xf// 00000000A7E0: 0A1616FA FF01578D
	v_pk_mul_f32 v[12:13], v[132:133], v[12:13]                // 00000000A7E8: D3B1400C 18021984
	v_pk_mul_f32 v[14:15], v[132:133], v[14:15]                // 00000000A7F0: D3B1400E 18021D84
	v_mul_f32_dpp v12, v141, v12 row_newbcast:8 row_mask:0xf bank_mask:0xf// 00000000A7F8: 0A1818FA FF01588D
	v_mul_f32_dpp v13, v141, v13 row_newbcast:9 row_mask:0xf bank_mask:0xf// 00000000A800: 0A1A1AFA FF01598D
	v_mul_f32_dpp v14, v141, v14 row_newbcast:10 row_mask:0xf bank_mask:0xf// 00000000A808: 0A1C1CFA FF015A8D
	v_mul_f32_dpp v15, v141, v15 row_newbcast:11 row_mask:0xf bank_mask:0xf// 00000000A810: 0A1E1EFA FF015B8D
	v_pk_mul_f32 v[16:17], v[132:133], v[16:17]                // 00000000A818: D3B14010 18022184
	v_pk_mul_f32 v[18:19], v[132:133], v[18:19]                // 00000000A820: D3B14012 18022584
	v_mul_f32_dpp v16, v141, v16 row_newbcast:12 row_mask:0xf bank_mask:0xf// 00000000A828: 0A2020FA FF015C8D
	v_mul_f32_dpp v17, v141, v17 row_newbcast:13 row_mask:0xf bank_mask:0xf// 00000000A830: 0A2222FA FF015D8D
	v_mul_f32_dpp v18, v141, v18 row_newbcast:14 row_mask:0xf bank_mask:0xf// 00000000A838: 0A2424FA FF015E8D
	v_mul_f32_dpp v19, v141, v19 row_newbcast:15 row_mask:0xf bank_mask:0xf// 00000000A840: 0A2626FA FF015F8D
	v_pk_mul_f32 v[20:21], v[134:135], v[20:21]                // 00000000A848: D3B14014 18022986
	v_pk_mul_f32 v[22:23], v[134:135], v[22:23]                // 00000000A850: D3B14016 18022D86
	v_mul_f32_dpp v20, v141, v20 row_newbcast:0 row_mask:0xf bank_mask:0xf// 00000000A858: 0A2828FA FF01508D
	v_mul_f32_dpp v21, v141, v21 row_newbcast:1 row_mask:0xf bank_mask:0xf// 00000000A860: 0A2A2AFA FF01518D
	v_mul_f32_dpp v22, v141, v22 row_newbcast:2 row_mask:0xf bank_mask:0xf// 00000000A868: 0A2C2CFA FF01528D
	v_mul_f32_dpp v23, v141, v23 row_newbcast:3 row_mask:0xf bank_mask:0xf// 00000000A870: 0A2E2EFA FF01538D
	v_pk_mul_f32 v[24:25], v[134:135], v[24:25]                // 00000000A878: D3B14018 18023186
	v_pk_mul_f32 v[26:27], v[134:135], v[26:27]                // 00000000A880: D3B1401A 18023586
	v_mul_f32_dpp v24, v141, v24 row_newbcast:4 row_mask:0xf bank_mask:0xf// 00000000A888: 0A3030FA FF01548D
	v_mul_f32_dpp v25, v141, v25 row_newbcast:5 row_mask:0xf bank_mask:0xf// 00000000A890: 0A3232FA FF01558D
	v_mul_f32_dpp v26, v141, v26 row_newbcast:6 row_mask:0xf bank_mask:0xf// 00000000A898: 0A3434FA FF01568D
	v_mul_f32_dpp v27, v141, v27 row_newbcast:7 row_mask:0xf bank_mask:0xf// 00000000A8A0: 0A3636FA FF01578D
	v_pk_mul_f32 v[28:29], v[134:135], v[28:29]                // 00000000A8A8: D3B1401C 18023986
	v_pk_mul_f32 v[30:31], v[134:135], v[30:31]                // 00000000A8B0: D3B1401E 18023D86
	v_mul_f32_dpp v28, v141, v28 row_newbcast:8 row_mask:0xf bank_mask:0xf// 00000000A8B8: 0A3838FA FF01588D
	v_mul_f32_dpp v29, v141, v29 row_newbcast:9 row_mask:0xf bank_mask:0xf// 00000000A8C0: 0A3A3AFA FF01598D
	v_mul_f32_dpp v30, v141, v30 row_newbcast:10 row_mask:0xf bank_mask:0xf// 00000000A8C8: 0A3C3CFA FF015A8D
	v_mul_f32_dpp v31, v141, v31 row_newbcast:11 row_mask:0xf bank_mask:0xf// 00000000A8D0: 0A3E3EFA FF015B8D
	v_pk_mul_f32 v[32:33], v[134:135], v[32:33]                // 00000000A8D8: D3B14020 18024186
	v_pk_mul_f32 v[34:35], v[134:135], v[34:35]                // 00000000A8E0: D3B14022 18024586
	v_mul_f32_dpp v32, v141, v32 row_newbcast:12 row_mask:0xf bank_mask:0xf// 00000000A8E8: 0A4040FA FF015C8D
	v_mul_f32_dpp v33, v141, v33 row_newbcast:13 row_mask:0xf bank_mask:0xf// 00000000A8F0: 0A4242FA FF015D8D
	v_mul_f32_dpp v34, v141, v34 row_newbcast:14 row_mask:0xf bank_mask:0xf// 00000000A8F8: 0A4444FA FF015E8D
	v_mul_f32_dpp v35, v141, v35 row_newbcast:15 row_mask:0xf bank_mask:0xf// 00000000A900: 0A4646FA FF015F8D
	v_pk_mul_f32 v[36:37], v[136:137], v[36:37]                // 00000000A908: D3B14024 18024988
	v_pk_mul_f32 v[38:39], v[136:137], v[38:39]                // 00000000A910: D3B14026 18024D88
	v_mul_f32_dpp v36, v141, v36 row_newbcast:0 row_mask:0xf bank_mask:0xf// 00000000A918: 0A4848FA FF01508D
	v_mul_f32_dpp v37, v141, v37 row_newbcast:1 row_mask:0xf bank_mask:0xf// 00000000A920: 0A4A4AFA FF01518D
	v_mul_f32_dpp v38, v141, v38 row_newbcast:2 row_mask:0xf bank_mask:0xf// 00000000A928: 0A4C4CFA FF01528D
	v_mul_f32_dpp v39, v141, v39 row_newbcast:3 row_mask:0xf bank_mask:0xf// 00000000A930: 0A4E4EFA FF01538D
	v_pk_mul_f32 v[40:41], v[136:137], v[40:41]                // 00000000A938: D3B14028 18025188
	v_pk_mul_f32 v[42:43], v[136:137], v[42:43]                // 00000000A940: D3B1402A 18025588
	v_mul_f32_dpp v40, v141, v40 row_newbcast:4 row_mask:0xf bank_mask:0xf// 00000000A948: 0A5050FA FF01548D
	v_mul_f32_dpp v41, v141, v41 row_newbcast:5 row_mask:0xf bank_mask:0xf// 00000000A950: 0A5252FA FF01558D
	v_mul_f32_dpp v42, v141, v42 row_newbcast:6 row_mask:0xf bank_mask:0xf// 00000000A958: 0A5454FA FF01568D
	v_mul_f32_dpp v43, v141, v43 row_newbcast:7 row_mask:0xf bank_mask:0xf// 00000000A960: 0A5656FA FF01578D
	v_pk_mul_f32 v[44:45], v[136:137], v[44:45]                // 00000000A968: D3B1402C 18025988
	v_pk_mul_f32 v[46:47], v[136:137], v[46:47]                // 00000000A970: D3B1402E 18025D88
	v_mul_f32_dpp v44, v141, v44 row_newbcast:8 row_mask:0xf bank_mask:0xf// 00000000A978: 0A5858FA FF01588D
	v_mul_f32_dpp v45, v141, v45 row_newbcast:9 row_mask:0xf bank_mask:0xf// 00000000A980: 0A5A5AFA FF01598D
	v_mul_f32_dpp v46, v141, v46 row_newbcast:10 row_mask:0xf bank_mask:0xf// 00000000A988: 0A5C5CFA FF015A8D
	v_mul_f32_dpp v47, v141, v47 row_newbcast:11 row_mask:0xf bank_mask:0xf// 00000000A990: 0A5E5EFA FF015B8D
	v_pk_mul_f32 v[48:49], v[136:137], v[48:49]                // 00000000A998: D3B14030 18026188
	v_pk_mul_f32 v[50:51], v[136:137], v[50:51]                // 00000000A9A0: D3B14032 18026588
	v_mul_f32_dpp v48, v141, v48 row_newbcast:12 row_mask:0xf bank_mask:0xf// 00000000A9A8: 0A6060FA FF015C8D
	v_mul_f32_dpp v49, v141, v49 row_newbcast:13 row_mask:0xf bank_mask:0xf// 00000000A9B0: 0A6262FA FF015D8D
	v_mul_f32_dpp v50, v141, v50 row_newbcast:14 row_mask:0xf bank_mask:0xf// 00000000A9B8: 0A6464FA FF015E8D
	v_mul_f32_dpp v51, v141, v51 row_newbcast:15 row_mask:0xf bank_mask:0xf// 00000000A9C0: 0A6666FA FF015F8D
	v_pk_mul_f32 v[52:53], v[138:139], v[52:53]                // 00000000A9C8: D3B14034 1802698A
	v_pk_mul_f32 v[54:55], v[138:139], v[54:55]                // 00000000A9D0: D3B14036 18026D8A
	v_mul_f32_dpp v52, v141, v52 row_newbcast:0 row_mask:0xf bank_mask:0xf// 00000000A9D8: 0A6868FA FF01508D
	v_mul_f32_dpp v53, v141, v53 row_newbcast:1 row_mask:0xf bank_mask:0xf// 00000000A9E0: 0A6A6AFA FF01518D
	v_mul_f32_dpp v54, v141, v54 row_newbcast:2 row_mask:0xf bank_mask:0xf// 00000000A9E8: 0A6C6CFA FF01528D
	v_mul_f32_dpp v55, v141, v55 row_newbcast:3 row_mask:0xf bank_mask:0xf// 00000000A9F0: 0A6E6EFA FF01538D
	v_pk_mul_f32 v[56:57], v[138:139], v[56:57]                // 00000000A9F8: D3B14038 1802718A
	v_pk_mul_f32 v[58:59], v[138:139], v[58:59]                // 00000000AA00: D3B1403A 1802758A
	v_mul_f32_dpp v56, v141, v56 row_newbcast:4 row_mask:0xf bank_mask:0xf// 00000000AA08: 0A7070FA FF01548D
	v_mul_f32_dpp v57, v141, v57 row_newbcast:5 row_mask:0xf bank_mask:0xf// 00000000AA10: 0A7272FA FF01558D
	v_mul_f32_dpp v58, v141, v58 row_newbcast:6 row_mask:0xf bank_mask:0xf// 00000000AA18: 0A7474FA FF01568D
	v_mul_f32_dpp v59, v141, v59 row_newbcast:7 row_mask:0xf bank_mask:0xf// 00000000AA20: 0A7676FA FF01578D
	v_pk_mul_f32 v[60:61], v[138:139], v[60:61]                // 00000000AA28: D3B1403C 1802798A
	v_pk_mul_f32 v[62:63], v[138:139], v[62:63]                // 00000000AA30: D3B1403E 18027D8A
	v_mul_f32_dpp v60, v141, v60 row_newbcast:8 row_mask:0xf bank_mask:0xf// 00000000AA38: 0A7878FA FF01588D
	v_mul_f32_dpp v61, v141, v61 row_newbcast:9 row_mask:0xf bank_mask:0xf// 00000000AA40: 0A7A7AFA FF01598D
	v_mul_f32_dpp v62, v141, v62 row_newbcast:10 row_mask:0xf bank_mask:0xf// 00000000AA48: 0A7C7CFA FF015A8D
	v_mul_f32_dpp v63, v141, v63 row_newbcast:11 row_mask:0xf bank_mask:0xf// 00000000AA50: 0A7E7EFA FF015B8D
	v_pk_mul_f32 v[64:65], v[138:139], v[64:65]                // 00000000AA58: D3B14040 1802818A
	v_pk_mul_f32 v[66:67], v[138:139], v[66:67]                // 00000000AA60: D3B14042 1802858A
	v_mul_f32_dpp v64, v141, v64 row_newbcast:12 row_mask:0xf bank_mask:0xf// 00000000AA68: 0A8080FA FF015C8D
	v_mul_f32_dpp v65, v141, v65 row_newbcast:13 row_mask:0xf bank_mask:0xf// 00000000AA70: 0A8282FA FF015D8D
	v_mul_f32_dpp v66, v141, v66 row_newbcast:14 row_mask:0xf bank_mask:0xf// 00000000AA78: 0A8484FA FF015E8D
	v_mul_f32_dpp v67, v141, v67 row_newbcast:15 row_mask:0xf bank_mask:0xf// 00000000AA80: 0A8686FA FF015F8D
	v_mov_b32_e32 v176, v4                                     // 00000000AA88: 7F600304
	v_max3_f32 v176, v4, v5, v176                              // 00000000AA8C: D1D300B0 06C20B04
	v_max3_f32 v176, v6, v7, v176                              // 00000000AA94: D1D300B0 06C20F06
	v_max3_f32 v176, v8, v9, v176                              // 00000000AA9C: D1D300B0 06C21308
	v_max3_f32 v176, v10, v11, v176                            // 00000000AAA4: D1D300B0 06C2170A
	v_max3_f32 v176, v12, v13, v176                            // 00000000AAAC: D1D300B0 06C21B0C
	v_max3_f32 v176, v14, v15, v176                            // 00000000AAB4: D1D300B0 06C21F0E
	v_max3_f32 v176, v16, v17, v176                            // 00000000AABC: D1D300B0 06C22310
	v_max3_f32 v176, v18, v19, v176                            // 00000000AAC4: D1D300B0 06C22712
	v_mov_b32_e32 v177, v20                                    // 00000000AACC: 7F620314
	v_max3_f32 v177, v20, v21, v177                            // 00000000AAD0: D1D300B1 06C62B14
	v_max3_f32 v177, v22, v23, v177                            // 00000000AAD8: D1D300B1 06C62F16
	v_max3_f32 v177, v24, v25, v177                            // 00000000AAE0: D1D300B1 06C63318
	v_max3_f32 v177, v26, v27, v177                            // 00000000AAE8: D1D300B1 06C6371A
	v_max3_f32 v177, v28, v29, v177                            // 00000000AAF0: D1D300B1 06C63B1C
	v_max3_f32 v177, v30, v31, v177                            // 00000000AAF8: D1D300B1 06C63F1E
	v_max3_f32 v177, v32, v33, v177                            // 00000000AB00: D1D300B1 06C64320
	v_max3_f32 v177, v34, v35, v177                            // 00000000AB08: D1D300B1 06C64722
	v_mov_b32_e32 v178, v36                                    // 00000000AB10: 7F640324
	v_max3_f32 v178, v36, v37, v178                            // 00000000AB14: D1D300B2 06CA4B24
	v_max3_f32 v178, v38, v39, v178                            // 00000000AB1C: D1D300B2 06CA4F26
	v_max3_f32 v178, v40, v41, v178                            // 00000000AB24: D1D300B2 06CA5328
	v_max3_f32 v178, v42, v43, v178                            // 00000000AB2C: D1D300B2 06CA572A
	v_max3_f32 v178, v44, v45, v178                            // 00000000AB34: D1D300B2 06CA5B2C
	v_max3_f32 v178, v46, v47, v178                            // 00000000AB3C: D1D300B2 06CA5F2E
	v_max3_f32 v178, v48, v49, v178                            // 00000000AB44: D1D300B2 06CA6330
	v_max3_f32 v178, v50, v51, v178                            // 00000000AB4C: D1D300B2 06CA6732
	v_mov_b32_e32 v179, v52                                    // 00000000AB54: 7F660334
	v_max3_f32 v179, v52, v53, v179                            // 00000000AB58: D1D300B3 06CE6B34
	v_max3_f32 v179, v54, v55, v179                            // 00000000AB60: D1D300B3 06CE6F36
	v_max3_f32 v179, v56, v57, v179                            // 00000000AB68: D1D300B3 06CE7338
	v_max3_f32 v179, v58, v59, v179                            // 00000000AB70: D1D300B3 06CE773A
	v_max3_f32 v179, v60, v61, v179                            // 00000000AB78: D1D300B3 06CE7B3C
	v_max3_f32 v179, v62, v63, v179                            // 00000000AB80: D1D300B3 06CE7F3E
	v_max3_f32 v179, v64, v65, v179                            // 00000000AB88: D1D300B3 06CE8340
	v_max3_f32 v179, v66, v67, v179                            // 00000000AB90: D1D300B3 06CE8742
	v_pk_mul_f32 v[100:101], v[160:161], v[100:101]            // 00000000AB98: D3B14064 1802C9A0
	v_pk_mul_f32 v[102:103], v[160:161], v[102:103]            // 00000000ABA0: D3B14066 1802CDA0
	v_pk_mul_f32 v[104:105], v[160:161], v[104:105]            // 00000000ABA8: D3B14068 1802D1A0
	v_pk_mul_f32 v[106:107], v[160:161], v[106:107]            // 00000000ABB0: D3B1406A 1802D5A0
	v_pk_mul_f32 v[108:109], v[162:163], v[108:109]            // 00000000ABB8: D3B1406C 1802D9A2
	v_pk_mul_f32 v[110:111], v[162:163], v[110:111]            // 00000000ABC0: D3B1406E 1802DDA2
	v_pk_mul_f32 v[112:113], v[162:163], v[112:113]            // 00000000ABC8: D3B14070 1802E1A2
	v_pk_mul_f32 v[114:115], v[162:163], v[114:115]            // 00000000ABD0: D3B14072 1802E5A2
	v_pk_mul_f32 v[116:117], v[164:165], v[116:117]            // 00000000ABD8: D3B14074 1802E9A4
	v_pk_mul_f32 v[118:119], v[164:165], v[118:119]            // 00000000ABE0: D3B14076 1802EDA4
	v_pk_mul_f32 v[120:121], v[164:165], v[120:121]            // 00000000ABE8: D3B14078 1802F1A4
	v_pk_mul_f32 v[122:123], v[164:165], v[122:123]            // 00000000ABF0: D3B1407A 1802F5A4
	v_pk_mul_f32 v[124:125], v[166:167], v[124:125]            // 00000000ABF8: D3B1407C 1802F9A6
	v_pk_mul_f32 v[126:127], v[166:167], v[126:127]            // 00000000AC00: D3B1407E 1802FDA6
	v_pk_mul_f32 v[128:129], v[166:167], v[128:129]            // 00000000AC08: D3B14080 180301A6
	v_pk_mul_f32 v[130:131], v[166:167], v[130:131]            // 00000000AC10: D3B14082 180305A6
	ds_bpermute_b32 v180, v200, v176                           // 00000000AC18: D87E0000 B400B0C8
	ds_bpermute_b32 v181, v201, v176                           // 00000000AC20: D87E0000 B500B0C9
	ds_bpermute_b32 v182, v202, v176                           // 00000000AC28: D87E0000 B600B0CA
	ds_bpermute_b32 v183, v200, v177                           // 00000000AC30: D87E0000 B700B1C8
	ds_bpermute_b32 v184, v201, v177                           // 00000000AC38: D87E0000 B800B1C9
	ds_bpermute_b32 v185, v202, v177                           // 00000000AC40: D87E0000 B900B1CA
	ds_bpermute_b32 v186, v200, v178                           // 00000000AC48: D87E0000 BA00B2C8
	ds_bpermute_b32 v187, v201, v178                           // 00000000AC50: D87E0000 BB00B2C9
	ds_bpermute_b32 v188, v202, v178                           // 00000000AC58: D87E0000 BC00B2CA
	ds_bpermute_b32 v189, v200, v179                           // 00000000AC60: D87E0000 BD00B3C8
	ds_bpermute_b32 v190, v201, v179                           // 00000000AC68: D87E0000 BE00B3C9
	ds_bpermute_b32 v191, v202, v179                           // 00000000AC70: D87E0000 BF00B3CA
	s_waitcnt lgkmcnt(9)                                       // 00000000AC78: BF8CC97F
	v_max3_f32 v176, v180, v181, v176                          // 00000000AC7C: D1D300B0 06C36BB4
	v_max_f32_e32 v176, v182, v176                             // 00000000AC84: 176161B6
	s_waitcnt lgkmcnt(6)                                       // 00000000AC88: BF8CC67F
	v_max3_f32 v177, v183, v184, v177                          // 00000000AC8C: D1D300B1 06C771B7
	v_max_f32_e32 v177, v185, v177                             // 00000000AC94: 176363B9
	s_waitcnt lgkmcnt(3)                                       // 00000000AC98: BF8CC37F
	v_max3_f32 v178, v186, v187, v178                          // 00000000AC9C: D1D300B2 06CB77BA
	v_max_f32_e32 v178, v188, v178                             // 00000000ACA4: 176565BC
	s_waitcnt lgkmcnt(0)                                       // 00000000ACA8: BF8CC07F
	v_max3_f32 v179, v189, v190, v179                          // 00000000ACAC: D1D300B3 06CF7DBD
	v_max_f32_e32 v179, v191, v179                             // 00000000ACB4: 176767BF
	ds_write_b128 v247, v[176:179]                             // 00000000ACB8: D9BE0000 0000B0F7
	s_waitcnt lgkmcnt(0)                                       // 00000000ACC0: BF8CC07F
	s_barrier                                                  // 00000000ACC4: BF8A0000
	v_pk_mul_f32 v[68:69], v[144:145], v[68:69]                // 00000000ACC8: D3B14044 18028990
	v_pk_mul_f32 v[70:71], v[144:145], v[70:71]                // 00000000ACD0: D3B14046 18028D90
	v_pk_mul_f32 v[72:73], v[144:145], v[72:73]                // 00000000ACD8: D3B14048 18029190
	v_pk_mul_f32 v[74:75], v[144:145], v[74:75]                // 00000000ACE0: D3B1404A 18029590
	v_pk_mul_f32 v[76:77], v[146:147], v[76:77]                // 00000000ACE8: D3B1404C 18029992
	v_pk_mul_f32 v[78:79], v[146:147], v[78:79]                // 00000000ACF0: D3B1404E 18029D92
	v_pk_mul_f32 v[80:81], v[146:147], v[80:81]                // 00000000ACF8: D3B14050 1802A192
	v_pk_mul_f32 v[82:83], v[146:147], v[82:83]                // 00000000AD00: D3B14052 1802A592
	v_pk_mul_f32 v[84:85], v[148:149], v[84:85]                // 00000000AD08: D3B14054 1802A994
	v_pk_mul_f32 v[86:87], v[148:149], v[86:87]                // 00000000AD10: D3B14056 1802AD94
	v_pk_mul_f32 v[88:89], v[148:149], v[88:89]                // 00000000AD18: D3B14058 1802B194
	v_pk_mul_f32 v[90:91], v[148:149], v[90:91]                // 00000000AD20: D3B1405A 1802B594
	v_pk_mul_f32 v[92:93], v[150:151], v[92:93]                // 00000000AD28: D3B1405C 1802B996
	v_pk_mul_f32 v[94:95], v[150:151], v[94:95]                // 00000000AD30: D3B1405E 1802BD96
	v_pk_mul_f32 v[96:97], v[150:151], v[96:97]                // 00000000AD38: D3B14060 1802C196
	v_pk_mul_f32 v[98:99], v[150:151], v[98:99]                // 00000000AD40: D3B14062 1802C596
	ds_read_b128 v[180:183], v248                              // 00000000AD48: D9FE0000 B40000F8
	ds_read_b128 v[184:187], v248 offset:256                   // 00000000AD50: D9FE0100 B80000F8
	ds_read_b128 v[188:191], v248 offset:512                   // 00000000AD58: D9FE0200 BC0000F8
	ds_read_b128 v[192:195], v248 offset:768                   // 00000000AD60: D9FE0300 C00000F8
	s_waitcnt lgkmcnt(0)                                       // 00000000AD68: BF8CC07F
	v_max3_f32 v176, v180, v184, v176                          // 00000000AD6C: D1D300B0 06C371B4
	v_max3_f32 v177, v181, v185, v177                          // 00000000AD74: D1D300B1 06C773B5
	v_max3_f32 v178, v182, v186, v178                          // 00000000AD7C: D1D300B2 06CB75B6
	v_max3_f32 v179, v183, v187, v179                          // 00000000AD84: D1D300B3 06CF77B7
	v_max3_f32 v176, v188, v192, v176                          // 00000000AD8C: D1D300B0 06C381BC
	v_max3_f32 v177, v189, v193, v177                          // 00000000AD94: D1D300B1 06C783BD
	v_max3_f32 v178, v190, v194, v178                          // 00000000AD9C: D1D300B2 06CB85BE
	v_max3_f32 v179, v191, v195, v179                          // 00000000ADA4: D1D300B3 06CF87BF
	v_max_f32_e32 v156, v176, v152                             // 00000000ADAC: 173931B0
	v_mul_f32_e64 v196, -s46, v156                             // 00000000ADB0: D10500C4 2003382E
	v_mov_b32_e32 v197, v196                                   // 00000000ADB8: 7F8A03C4
	v_pk_fma_f32 v[4:5], v[4:5], s[46:47], v[196:197]          // 00000000ADBC: D3B04004 1F105D04
	v_pk_fma_f32 v[6:7], v[6:7], s[46:47], v[196:197]          // 00000000ADC4: D3B04006 1F105D06
	v_exp_f32_e32 v4, v4                                       // 00000000ADCC: 7E084104
	v_exp_f32_e32 v5, v5                                       // 00000000ADD0: 7E0A4105
	v_exp_f32_e32 v6, v6                                       // 00000000ADD4: 7E0C4106
	v_exp_f32_e32 v7, v7                                       // 00000000ADD8: 7E0E4107
	v_pk_fma_f32 v[8:9], v[8:9], s[46:47], v[196:197]          // 00000000ADDC: D3B04008 1F105D08
	v_pk_fma_f32 v[10:11], v[10:11], s[46:47], v[196:197]      // 00000000ADE4: D3B0400A 1F105D0A
	v_exp_f32_e32 v8, v8                                       // 00000000ADEC: 7E104108
	v_exp_f32_e32 v9, v9                                       // 00000000ADF0: 7E124109
	v_exp_f32_e32 v10, v10                                     // 00000000ADF4: 7E14410A
	v_exp_f32_e32 v11, v11                                     // 00000000ADF8: 7E16410B
	v_pk_fma_f32 v[12:13], v[12:13], s[46:47], v[196:197]      // 00000000ADFC: D3B0400C 1F105D0C
	v_pk_fma_f32 v[14:15], v[14:15], s[46:47], v[196:197]      // 00000000AE04: D3B0400E 1F105D0E
	v_exp_f32_e32 v12, v12                                     // 00000000AE0C: 7E18410C
	v_exp_f32_e32 v13, v13                                     // 00000000AE10: 7E1A410D
	v_exp_f32_e32 v14, v14                                     // 00000000AE14: 7E1C410E
	v_exp_f32_e32 v15, v15                                     // 00000000AE18: 7E1E410F
	v_pk_fma_f32 v[16:17], v[16:17], s[46:47], v[196:197]      // 00000000AE1C: D3B04010 1F105D10
	v_pk_fma_f32 v[18:19], v[18:19], s[46:47], v[196:197]      // 00000000AE24: D3B04012 1F105D12
	v_exp_f32_e32 v16, v16                                     // 00000000AE2C: 7E204110
	v_exp_f32_e32 v17, v17                                     // 00000000AE30: 7E224111
	v_exp_f32_e32 v18, v18                                     // 00000000AE34: 7E244112
	v_exp_f32_e32 v19, v19                                     // 00000000AE38: 7E264113
	v_max_f32_e32 v157, v177, v153                             // 00000000AE3C: 173B33B1
	v_mul_f32_e64 v196, -s46, v157                             // 00000000AE40: D10500C4 20033A2E
	v_mov_b32_e32 v197, v196                                   // 00000000AE48: 7F8A03C4
	v_pk_fma_f32 v[20:21], v[20:21], s[46:47], v[196:197]      // 00000000AE4C: D3B04014 1F105D14
	v_pk_fma_f32 v[22:23], v[22:23], s[46:47], v[196:197]      // 00000000AE54: D3B04016 1F105D16
	v_exp_f32_e32 v20, v20                                     // 00000000AE5C: 7E284114
	v_exp_f32_e32 v21, v21                                     // 00000000AE60: 7E2A4115
	v_exp_f32_e32 v22, v22                                     // 00000000AE64: 7E2C4116
	v_exp_f32_e32 v23, v23                                     // 00000000AE68: 7E2E4117
	v_pk_fma_f32 v[24:25], v[24:25], s[46:47], v[196:197]      // 00000000AE6C: D3B04018 1F105D18
	v_pk_fma_f32 v[26:27], v[26:27], s[46:47], v[196:197]      // 00000000AE74: D3B0401A 1F105D1A
	v_exp_f32_e32 v24, v24                                     // 00000000AE7C: 7E304118
	v_exp_f32_e32 v25, v25                                     // 00000000AE80: 7E324119
	v_exp_f32_e32 v26, v26                                     // 00000000AE84: 7E34411A
	v_exp_f32_e32 v27, v27                                     // 00000000AE88: 7E36411B
	v_pk_fma_f32 v[28:29], v[28:29], s[46:47], v[196:197]      // 00000000AE8C: D3B0401C 1F105D1C
	v_pk_fma_f32 v[30:31], v[30:31], s[46:47], v[196:197]      // 00000000AE94: D3B0401E 1F105D1E
	v_exp_f32_e32 v28, v28                                     // 00000000AE9C: 7E38411C
	v_exp_f32_e32 v29, v29                                     // 00000000AEA0: 7E3A411D
	v_exp_f32_e32 v30, v30                                     // 00000000AEA4: 7E3C411E
	v_exp_f32_e32 v31, v31                                     // 00000000AEA8: 7E3E411F
	v_pk_fma_f32 v[32:33], v[32:33], s[46:47], v[196:197]      // 00000000AEAC: D3B04020 1F105D20
	v_pk_fma_f32 v[34:35], v[34:35], s[46:47], v[196:197]      // 00000000AEB4: D3B04022 1F105D22
	v_exp_f32_e32 v32, v32                                     // 00000000AEBC: 7E404120
	v_exp_f32_e32 v33, v33                                     // 00000000AEC0: 7E424121
	v_exp_f32_e32 v34, v34                                     // 00000000AEC4: 7E444122
	v_exp_f32_e32 v35, v35                                     // 00000000AEC8: 7E464123
	v_max_f32_e32 v158, v178, v154                             // 00000000AECC: 173D35B2
	v_mul_f32_e64 v196, -s46, v158                             // 00000000AED0: D10500C4 20033C2E
	v_mov_b32_e32 v197, v196                                   // 00000000AED8: 7F8A03C4
	v_pk_fma_f32 v[36:37], v[36:37], s[46:47], v[196:197]      // 00000000AEDC: D3B04024 1F105D24
	v_pk_fma_f32 v[38:39], v[38:39], s[46:47], v[196:197]      // 00000000AEE4: D3B04026 1F105D26
	v_exp_f32_e32 v36, v36                                     // 00000000AEEC: 7E484124
	v_exp_f32_e32 v37, v37                                     // 00000000AEF0: 7E4A4125
	v_exp_f32_e32 v38, v38                                     // 00000000AEF4: 7E4C4126
	v_exp_f32_e32 v39, v39                                     // 00000000AEF8: 7E4E4127
	v_pk_fma_f32 v[40:41], v[40:41], s[46:47], v[196:197]      // 00000000AEFC: D3B04028 1F105D28
	v_pk_fma_f32 v[42:43], v[42:43], s[46:47], v[196:197]      // 00000000AF04: D3B0402A 1F105D2A
	v_exp_f32_e32 v40, v40                                     // 00000000AF0C: 7E504128
	v_exp_f32_e32 v41, v41                                     // 00000000AF10: 7E524129
	v_exp_f32_e32 v42, v42                                     // 00000000AF14: 7E54412A
	v_exp_f32_e32 v43, v43                                     // 00000000AF18: 7E56412B
	v_pk_fma_f32 v[44:45], v[44:45], s[46:47], v[196:197]      // 00000000AF1C: D3B0402C 1F105D2C
	v_pk_fma_f32 v[46:47], v[46:47], s[46:47], v[196:197]      // 00000000AF24: D3B0402E 1F105D2E
	v_exp_f32_e32 v44, v44                                     // 00000000AF2C: 7E58412C
	v_exp_f32_e32 v45, v45                                     // 00000000AF30: 7E5A412D
	v_exp_f32_e32 v46, v46                                     // 00000000AF34: 7E5C412E
	v_exp_f32_e32 v47, v47                                     // 00000000AF38: 7E5E412F
	v_pk_fma_f32 v[48:49], v[48:49], s[46:47], v[196:197]      // 00000000AF3C: D3B04030 1F105D30
	v_pk_fma_f32 v[50:51], v[50:51], s[46:47], v[196:197]      // 00000000AF44: D3B04032 1F105D32
	v_exp_f32_e32 v48, v48                                     // 00000000AF4C: 7E604130
	v_exp_f32_e32 v49, v49                                     // 00000000AF50: 7E624131
	v_exp_f32_e32 v50, v50                                     // 00000000AF54: 7E644132
	v_exp_f32_e32 v51, v51                                     // 00000000AF58: 7E664133
	v_max_f32_e32 v159, v179, v155                             // 00000000AF5C: 173F37B3
	v_mul_f32_e64 v196, -s46, v159                             // 00000000AF60: D10500C4 20033E2E
	v_mov_b32_e32 v197, v196                                   // 00000000AF68: 7F8A03C4
	v_pk_fma_f32 v[52:53], v[52:53], s[46:47], v[196:197]      // 00000000AF6C: D3B04034 1F105D34
	v_pk_fma_f32 v[54:55], v[54:55], s[46:47], v[196:197]      // 00000000AF74: D3B04036 1F105D36
	v_exp_f32_e32 v52, v52                                     // 00000000AF7C: 7E684134
	v_exp_f32_e32 v53, v53                                     // 00000000AF80: 7E6A4135
	v_exp_f32_e32 v54, v54                                     // 00000000AF84: 7E6C4136
	v_exp_f32_e32 v55, v55                                     // 00000000AF88: 7E6E4137
	v_pk_fma_f32 v[56:57], v[56:57], s[46:47], v[196:197]      // 00000000AF8C: D3B04038 1F105D38
	v_pk_fma_f32 v[58:59], v[58:59], s[46:47], v[196:197]      // 00000000AF94: D3B0403A 1F105D3A
	v_exp_f32_e32 v56, v56                                     // 00000000AF9C: 7E704138
	v_exp_f32_e32 v57, v57                                     // 00000000AFA0: 7E724139
	v_exp_f32_e32 v58, v58                                     // 00000000AFA4: 7E74413A
	v_exp_f32_e32 v59, v59                                     // 00000000AFA8: 7E76413B
	v_pk_fma_f32 v[60:61], v[60:61], s[46:47], v[196:197]      // 00000000AFAC: D3B0403C 1F105D3C
	v_pk_fma_f32 v[62:63], v[62:63], s[46:47], v[196:197]      // 00000000AFB4: D3B0403E 1F105D3E
	v_exp_f32_e32 v60, v60                                     // 00000000AFBC: 7E78413C
	v_exp_f32_e32 v61, v61                                     // 00000000AFC0: 7E7A413D
	v_exp_f32_e32 v62, v62                                     // 00000000AFC4: 7E7C413E
	v_exp_f32_e32 v63, v63                                     // 00000000AFC8: 7E7E413F
	v_pk_fma_f32 v[64:65], v[64:65], s[46:47], v[196:197]      // 00000000AFCC: D3B04040 1F105D40
	v_pk_fma_f32 v[66:67], v[66:67], s[46:47], v[196:197]      // 00000000AFD4: D3B04042 1F105D42
	v_exp_f32_e32 v64, v64                                     // 00000000AFDC: 7E804140
	v_exp_f32_e32 v65, v65                                     // 00000000AFE0: 7E824141
	v_exp_f32_e32 v66, v66                                     // 00000000AFE4: 7E844142
	v_exp_f32_e32 v67, v67                                     // 00000000AFE8: 7E864143
	v_sub_f32_e32 v160, v152, v156                             // 00000000AFEC: 05413998
	v_cmp_eq_u32_e64 s[98:99], v216, v152                      // 00000000AFF0: D0CA0062 000331D8
	v_cndmask_b32_e64 v160, v160, 0, s[98:99]                  // 00000000AFF8: D10000A0 018901A0
	v_mov_b32_e32 v152, v156                                   // 00000000B000: 7F30039C
	v_mul_f32_e32 v160, s46, v160                              // 00000000B004: 0B41402E
	v_exp_f32_e32 v160, v160                                   // 00000000B008: 7F4041A0
	v_sub_f32_e32 v162, v153, v157                             // 00000000B00C: 05453B99
	v_cmp_eq_u32_e64 s[98:99], v216, v153                      // 00000000B010: D0CA0062 000333D8
	v_cndmask_b32_e64 v162, v162, 0, s[98:99]                  // 00000000B018: D10000A2 018901A2
	v_mov_b32_e32 v153, v157                                   // 00000000B020: 7F32039D
	v_mul_f32_e32 v162, s46, v162                              // 00000000B024: 0B45442E
	v_exp_f32_e32 v162, v162                                   // 00000000B028: 7F4441A2
	v_sub_f32_e32 v164, v154, v158                             // 00000000B02C: 05493D9A
	v_cmp_eq_u32_e64 s[98:99], v216, v154                      // 00000000B030: D0CA0062 000335D8
	v_cndmask_b32_e64 v164, v164, 0, s[98:99]                  // 00000000B038: D10000A4 018901A4
	v_mov_b32_e32 v154, v158                                   // 00000000B040: 7F34039E
	v_mul_f32_e32 v164, s46, v164                              // 00000000B044: 0B49482E
	v_exp_f32_e32 v164, v164                                   // 00000000B048: 7F4841A4
	v_sub_f32_e32 v166, v155, v159                             // 00000000B04C: 054D3F9B
	v_cmp_eq_u32_e64 s[98:99], v216, v155                      // 00000000B050: D0CA0062 000337D8
	v_cndmask_b32_e64 v166, v166, 0, s[98:99]                  // 00000000B058: D10000A6 018901A6
	v_mov_b32_e32 v155, v159                                   // 00000000B060: 7F36039F
	v_mul_f32_e32 v166, s46, v166                              // 00000000B064: 0B4D4C2E
	v_exp_f32_e32 v166, v166                                   // 00000000B068: 7F4C41A6
	v_mov_b32_e32 v161, v160                                   // 00000000B06C: 7F4203A0
	v_mov_b32_e32 v163, v162                                   // 00000000B070: 7F4603A2
	v_mov_b32_e32 v165, v164                                   // 00000000B074: 7F4A03A4
	v_mov_b32_e32 v167, v166                                   // 00000000B078: 7F4E03A6
	v_mul_f32_e32 v168, v160, v168                             // 00000000B07C: 0B5151A0
	v_mov_b32_e32 v169, 0                                      // 00000000B080: 7F520280
	v_pk_add_f32 v[168:169], v[4:5], v[168:169]                // 00000000B084: D3B240A8 18035104
	v_pk_add_f32 v[168:169], v[6:7], v[168:169]                // 00000000B08C: D3B240A8 18035106
	v_pk_add_f32 v[168:169], v[8:9], v[168:169]                // 00000000B094: D3B240A8 18035108
	v_pk_add_f32 v[168:169], v[10:11], v[168:169]              // 00000000B09C: D3B240A8 1803510A
	v_pk_add_f32 v[168:169], v[12:13], v[168:169]              // 00000000B0A4: D3B240A8 1803510C
	v_pk_add_f32 v[168:169], v[14:15], v[168:169]              // 00000000B0AC: D3B240A8 1803510E
	v_pk_add_f32 v[168:169], v[16:17], v[168:169]              // 00000000B0B4: D3B240A8 18035110
	v_pk_add_f32 v[168:169], v[18:19], v[168:169]              // 00000000B0BC: D3B240A8 18035112
	v_add_f32_e32 v168, v169, v168                             // 00000000B0C4: 035151A9
	v_mul_f32_e32 v170, v162, v170                             // 00000000B0C8: 0B5555A2
	v_mov_b32_e32 v171, 0                                      // 00000000B0CC: 7F560280
	v_pk_add_f32 v[170:171], v[20:21], v[170:171]              // 00000000B0D0: D3B240AA 18035514
	v_pk_add_f32 v[170:171], v[22:23], v[170:171]              // 00000000B0D8: D3B240AA 18035516
	v_pk_add_f32 v[170:171], v[24:25], v[170:171]              // 00000000B0E0: D3B240AA 18035518
	v_pk_add_f32 v[170:171], v[26:27], v[170:171]              // 00000000B0E8: D3B240AA 1803551A
	v_pk_add_f32 v[170:171], v[28:29], v[170:171]              // 00000000B0F0: D3B240AA 1803551C
	v_pk_add_f32 v[170:171], v[30:31], v[170:171]              // 00000000B0F8: D3B240AA 1803551E
	v_pk_add_f32 v[170:171], v[32:33], v[170:171]              // 00000000B100: D3B240AA 18035520
	v_pk_add_f32 v[170:171], v[34:35], v[170:171]              // 00000000B108: D3B240AA 18035522
	v_add_f32_e32 v170, v171, v170                             // 00000000B110: 035555AB
	v_mul_f32_e32 v172, v164, v172                             // 00000000B114: 0B5959A4
	v_mov_b32_e32 v173, 0                                      // 00000000B118: 7F5A0280
	v_pk_add_f32 v[172:173], v[36:37], v[172:173]              // 00000000B11C: D3B240AC 18035924
	v_pk_add_f32 v[172:173], v[38:39], v[172:173]              // 00000000B124: D3B240AC 18035926
	v_pk_add_f32 v[172:173], v[40:41], v[172:173]              // 00000000B12C: D3B240AC 18035928
	v_pk_add_f32 v[172:173], v[42:43], v[172:173]              // 00000000B134: D3B240AC 1803592A
	v_pk_add_f32 v[172:173], v[44:45], v[172:173]              // 00000000B13C: D3B240AC 1803592C
	v_pk_add_f32 v[172:173], v[46:47], v[172:173]              // 00000000B144: D3B240AC 1803592E
	v_pk_add_f32 v[172:173], v[48:49], v[172:173]              // 00000000B14C: D3B240AC 18035930
	v_pk_add_f32 v[172:173], v[50:51], v[172:173]              // 00000000B154: D3B240AC 18035932
	v_add_f32_e32 v172, v173, v172                             // 00000000B15C: 035959AD
	v_mul_f32_e32 v174, v166, v174                             // 00000000B160: 0B5D5DA6
	v_mov_b32_e32 v175, 0                                      // 00000000B164: 7F5E0280
	v_pk_add_f32 v[174:175], v[52:53], v[174:175]              // 00000000B168: D3B240AE 18035D34
	v_pk_add_f32 v[174:175], v[54:55], v[174:175]              // 00000000B170: D3B240AE 18035D36
	v_pk_add_f32 v[174:175], v[56:57], v[174:175]              // 00000000B178: D3B240AE 18035D38
	v_pk_add_f32 v[174:175], v[58:59], v[174:175]              // 00000000B180: D3B240AE 18035D3A
	v_pk_add_f32 v[174:175], v[60:61], v[174:175]              // 00000000B188: D3B240AE 18035D3C
	v_pk_add_f32 v[174:175], v[62:63], v[174:175]              // 00000000B190: D3B240AE 18035D3E
	v_pk_add_f32 v[174:175], v[64:65], v[174:175]              // 00000000B198: D3B240AE 18035D40
	v_pk_add_f32 v[174:175], v[66:67], v[174:175]              // 00000000B1A0: D3B240AE 18035D42
	v_add_f32_e32 v174, v175, v174                             // 00000000B1A8: 035D5DAF
	v_mul_f32_dpp v4, v143, v4 row_newbcast:0 row_mask:0xf bank_mask:0xf// 00000000B1AC: 0A0808FA FF01508F
	v_mul_f32_dpp v5, v143, v5 row_newbcast:1 row_mask:0xf bank_mask:0xf// 00000000B1B4: 0A0A0AFA FF01518F
	v_mul_f32_dpp v6, v143, v6 row_newbcast:2 row_mask:0xf bank_mask:0xf// 00000000B1BC: 0A0C0CFA FF01528F
	v_mul_f32_dpp v7, v143, v7 row_newbcast:3 row_mask:0xf bank_mask:0xf// 00000000B1C4: 0A0E0EFA FF01538F
	v_mul_f32_dpp v8, v143, v8 row_newbcast:4 row_mask:0xf bank_mask:0xf// 00000000B1CC: 0A1010FA FF01548F
	v_mul_f32_dpp v9, v143, v9 row_newbcast:5 row_mask:0xf bank_mask:0xf// 00000000B1D4: 0A1212FA FF01558F
	v_mul_f32_dpp v10, v143, v10 row_newbcast:6 row_mask:0xf bank_mask:0xf// 00000000B1DC: 0A1414FA FF01568F
	v_mul_f32_dpp v11, v143, v11 row_newbcast:7 row_mask:0xf bank_mask:0xf// 00000000B1E4: 0A1616FA FF01578F
	v_mul_f32_dpp v12, v143, v12 row_newbcast:8 row_mask:0xf bank_mask:0xf// 00000000B1EC: 0A1818FA FF01588F
	v_mul_f32_dpp v13, v143, v13 row_newbcast:9 row_mask:0xf bank_mask:0xf// 00000000B1F4: 0A1A1AFA FF01598F
	v_mul_f32_dpp v14, v143, v14 row_newbcast:10 row_mask:0xf bank_mask:0xf// 00000000B1FC: 0A1C1CFA FF015A8F
	v_mul_f32_dpp v15, v143, v15 row_newbcast:11 row_mask:0xf bank_mask:0xf// 00000000B204: 0A1E1EFA FF015B8F
	v_mul_f32_dpp v16, v143, v16 row_newbcast:12 row_mask:0xf bank_mask:0xf// 00000000B20C: 0A2020FA FF015C8F
	v_mul_f32_dpp v17, v143, v17 row_newbcast:13 row_mask:0xf bank_mask:0xf// 00000000B214: 0A2222FA FF015D8F
	v_mul_f32_dpp v18, v143, v18 row_newbcast:14 row_mask:0xf bank_mask:0xf// 00000000B21C: 0A2424FA FF015E8F
	v_mul_f32_dpp v19, v143, v19 row_newbcast:15 row_mask:0xf bank_mask:0xf// 00000000B224: 0A2626FA FF015F8F
	v_mul_f32_dpp v20, v143, v20 row_newbcast:0 row_mask:0xf bank_mask:0xf// 00000000B22C: 0A2828FA FF01508F
	v_mul_f32_dpp v21, v143, v21 row_newbcast:1 row_mask:0xf bank_mask:0xf// 00000000B234: 0A2A2AFA FF01518F
	v_mul_f32_dpp v22, v143, v22 row_newbcast:2 row_mask:0xf bank_mask:0xf// 00000000B23C: 0A2C2CFA FF01528F
	v_mul_f32_dpp v23, v143, v23 row_newbcast:3 row_mask:0xf bank_mask:0xf// 00000000B244: 0A2E2EFA FF01538F
	v_mul_f32_dpp v24, v143, v24 row_newbcast:4 row_mask:0xf bank_mask:0xf// 00000000B24C: 0A3030FA FF01548F
	v_mul_f32_dpp v25, v143, v25 row_newbcast:5 row_mask:0xf bank_mask:0xf// 00000000B254: 0A3232FA FF01558F
	v_mul_f32_dpp v26, v143, v26 row_newbcast:6 row_mask:0xf bank_mask:0xf// 00000000B25C: 0A3434FA FF01568F
	v_mul_f32_dpp v27, v143, v27 row_newbcast:7 row_mask:0xf bank_mask:0xf// 00000000B264: 0A3636FA FF01578F
	v_mul_f32_dpp v28, v143, v28 row_newbcast:8 row_mask:0xf bank_mask:0xf// 00000000B26C: 0A3838FA FF01588F
	v_mul_f32_dpp v29, v143, v29 row_newbcast:9 row_mask:0xf bank_mask:0xf// 00000000B274: 0A3A3AFA FF01598F
	v_mul_f32_dpp v30, v143, v30 row_newbcast:10 row_mask:0xf bank_mask:0xf// 00000000B27C: 0A3C3CFA FF015A8F
	v_mul_f32_dpp v31, v143, v31 row_newbcast:11 row_mask:0xf bank_mask:0xf// 00000000B284: 0A3E3EFA FF015B8F
	v_mul_f32_dpp v32, v143, v32 row_newbcast:12 row_mask:0xf bank_mask:0xf// 00000000B28C: 0A4040FA FF015C8F
	v_mul_f32_dpp v33, v143, v33 row_newbcast:13 row_mask:0xf bank_mask:0xf// 00000000B294: 0A4242FA FF015D8F
	v_mul_f32_dpp v34, v143, v34 row_newbcast:14 row_mask:0xf bank_mask:0xf// 00000000B29C: 0A4444FA FF015E8F
	v_mul_f32_dpp v35, v143, v35 row_newbcast:15 row_mask:0xf bank_mask:0xf// 00000000B2A4: 0A4646FA FF015F8F
	v_mul_f32_dpp v36, v143, v36 row_newbcast:0 row_mask:0xf bank_mask:0xf// 00000000B2AC: 0A4848FA FF01508F
	v_mul_f32_dpp v37, v143, v37 row_newbcast:1 row_mask:0xf bank_mask:0xf// 00000000B2B4: 0A4A4AFA FF01518F
	v_mul_f32_dpp v38, v143, v38 row_newbcast:2 row_mask:0xf bank_mask:0xf// 00000000B2BC: 0A4C4CFA FF01528F
	v_mul_f32_dpp v39, v143, v39 row_newbcast:3 row_mask:0xf bank_mask:0xf// 00000000B2C4: 0A4E4EFA FF01538F
	v_mul_f32_dpp v40, v143, v40 row_newbcast:4 row_mask:0xf bank_mask:0xf// 00000000B2CC: 0A5050FA FF01548F
	v_mul_f32_dpp v41, v143, v41 row_newbcast:5 row_mask:0xf bank_mask:0xf// 00000000B2D4: 0A5252FA FF01558F
	v_mul_f32_dpp v42, v143, v42 row_newbcast:6 row_mask:0xf bank_mask:0xf// 00000000B2DC: 0A5454FA FF01568F
	v_mul_f32_dpp v43, v143, v43 row_newbcast:7 row_mask:0xf bank_mask:0xf// 00000000B2E4: 0A5656FA FF01578F
	v_mul_f32_dpp v44, v143, v44 row_newbcast:8 row_mask:0xf bank_mask:0xf// 00000000B2EC: 0A5858FA FF01588F
	v_mul_f32_dpp v45, v143, v45 row_newbcast:9 row_mask:0xf bank_mask:0xf// 00000000B2F4: 0A5A5AFA FF01598F
	v_mul_f32_dpp v46, v143, v46 row_newbcast:10 row_mask:0xf bank_mask:0xf// 00000000B2FC: 0A5C5CFA FF015A8F
	v_mul_f32_dpp v47, v143, v47 row_newbcast:11 row_mask:0xf bank_mask:0xf// 00000000B304: 0A5E5EFA FF015B8F
	v_mul_f32_dpp v48, v143, v48 row_newbcast:12 row_mask:0xf bank_mask:0xf// 00000000B30C: 0A6060FA FF015C8F
	v_mul_f32_dpp v49, v143, v49 row_newbcast:13 row_mask:0xf bank_mask:0xf// 00000000B314: 0A6262FA FF015D8F
	v_mul_f32_dpp v50, v143, v50 row_newbcast:14 row_mask:0xf bank_mask:0xf// 00000000B31C: 0A6464FA FF015E8F
	v_mul_f32_dpp v51, v143, v51 row_newbcast:15 row_mask:0xf bank_mask:0xf// 00000000B324: 0A6666FA FF015F8F
	v_mul_f32_dpp v52, v143, v52 row_newbcast:0 row_mask:0xf bank_mask:0xf// 00000000B32C: 0A6868FA FF01508F
	v_mul_f32_dpp v53, v143, v53 row_newbcast:1 row_mask:0xf bank_mask:0xf// 00000000B334: 0A6A6AFA FF01518F
	v_mul_f32_dpp v54, v143, v54 row_newbcast:2 row_mask:0xf bank_mask:0xf// 00000000B33C: 0A6C6CFA FF01528F
	v_mul_f32_dpp v55, v143, v55 row_newbcast:3 row_mask:0xf bank_mask:0xf// 00000000B344: 0A6E6EFA FF01538F
	v_mul_f32_dpp v56, v143, v56 row_newbcast:4 row_mask:0xf bank_mask:0xf// 00000000B34C: 0A7070FA FF01548F
	v_mul_f32_dpp v57, v143, v57 row_newbcast:5 row_mask:0xf bank_mask:0xf// 00000000B354: 0A7272FA FF01558F
	v_mul_f32_dpp v58, v143, v58 row_newbcast:6 row_mask:0xf bank_mask:0xf// 00000000B35C: 0A7474FA FF01568F
	v_mul_f32_dpp v59, v143, v59 row_newbcast:7 row_mask:0xf bank_mask:0xf// 00000000B364: 0A7676FA FF01578F
	v_mul_f32_dpp v60, v143, v60 row_newbcast:8 row_mask:0xf bank_mask:0xf// 00000000B36C: 0A7878FA FF01588F
	v_mul_f32_dpp v61, v143, v61 row_newbcast:9 row_mask:0xf bank_mask:0xf// 00000000B374: 0A7A7AFA FF01598F
	v_mul_f32_dpp v62, v143, v62 row_newbcast:10 row_mask:0xf bank_mask:0xf// 00000000B37C: 0A7C7CFA FF015A8F
	v_mul_f32_dpp v63, v143, v63 row_newbcast:11 row_mask:0xf bank_mask:0xf// 00000000B384: 0A7E7EFA FF015B8F
	v_mul_f32_dpp v64, v143, v64 row_newbcast:12 row_mask:0xf bank_mask:0xf// 00000000B38C: 0A8080FA FF015C8F
	v_mul_f32_dpp v65, v143, v65 row_newbcast:13 row_mask:0xf bank_mask:0xf// 00000000B394: 0A8282FA FF015D8F
	v_mul_f32_dpp v66, v143, v66 row_newbcast:14 row_mask:0xf bank_mask:0xf// 00000000B39C: 0A8484FA FF015E8F
	v_mul_f32_dpp v67, v143, v67 row_newbcast:15 row_mask:0xf bank_mask:0xf// 00000000B3A4: 0A8686FA FF015F8F
	buffer_load_dword v140, v231, s[20:23], 0 offen            // 00000000B3AC: E0501000 80058CE7
	s_waitcnt lgkmcnt(0)                                       // 00000000B3B4: BF8CC07F
	s_barrier                                                  // 00000000B3B8: BF8A0000
	buffer_load_dword v142, v232, s[24:27], 0 offen            // 00000000B3BC: E0501000 80068EE8
	s_waitcnt lgkmcnt(0)                                       // 00000000B3C4: BF8CC07F
	v_sub_f32_e32 v176, v176, v152                             // 00000000B3C8: 056131B0
	v_sub_f32_e32 v177, v177, v153                             // 00000000B3CC: 056333B1
	v_sub_f32_e32 v178, v178, v154                             // 00000000B3D0: 056535B2
	v_sub_f32_e32 v179, v179, v155                             // 00000000B3D4: 056737B3
	v_mul_f32_e32 v176, s46, v176                              // 00000000B3D8: 0B61602E
	v_mul_f32_e32 v177, s46, v177                              // 00000000B3DC: 0B63622E
	v_mul_f32_e32 v178, s46, v178                              // 00000000B3E0: 0B65642E
	v_mul_f32_e32 v179, s46, v179                              // 00000000B3E4: 0B67662E
	v_exp_f32_e32 v176, v176                                   // 00000000B3E8: 7F6041B0
	v_exp_f32_e32 v177, v177                                   // 00000000B3EC: 7F6241B1
	v_exp_f32_e32 v178, v178                                   // 00000000B3F0: 7F6441B2
	v_exp_f32_e32 v179, v179                                   // 00000000B3F4: 7F6641B3
	v_mul_f32_e32 v176, v143, v176                             // 00000000B3F8: 0B61618F
	v_mul_f32_e32 v177, v143, v177                             // 00000000B3FC: 0B63638F
	v_mul_f32_e32 v178, v143, v178                             // 00000000B400: 0B65658F
	v_mul_f32_e32 v179, v143, v179                             // 00000000B404: 0B67678F
	v_add_f32_e32 v176, 0x3089705f, v176                       // 00000000B408: 036160FF 3089705F
	v_add_f32_e32 v177, 0x3089705f, v177                       // 00000000B410: 036362FF 3089705F
	v_add_f32_e32 v178, 0x3089705f, v178                       // 00000000B418: 036564FF 3089705F
	v_add_f32_e32 v179, 0x3089705f, v179                       // 00000000B420: 036766FF 3089705F
	v_rcp_f32_e32 v176, v176                                   // 00000000B428: 7F6045B0
	v_rcp_f32_e32 v177, v177                                   // 00000000B42C: 7F6245B1
	v_rcp_f32_e32 v178, v178                                   // 00000000B430: 7F6445B2
	v_rcp_f32_e32 v179, v179                                   // 00000000B434: 7F6645B3
	v_mul_f32_e32 v176, 0x43700000, v176                       // 00000000B438: 0B6160FF 43700000
	v_mul_f32_e32 v177, 0x43700000, v177                       // 00000000B440: 0B6362FF 43700000
	v_mul_f32_e32 v178, 0x43700000, v178                       // 00000000B448: 0B6564FF 43700000
	v_mul_f32_e32 v179, 0x43700000, v179                       // 00000000B450: 0B6766FF 43700000
	v_mul_f32_e32 v4, v176, v4                                 // 00000000B458: 0A0809B0
	v_mul_f32_e32 v5, v176, v5                                 // 00000000B45C: 0A0A0BB0
	v_mul_f32_e32 v6, v176, v6                                 // 00000000B460: 0A0C0DB0
	v_mul_f32_e32 v7, v176, v7                                 // 00000000B464: 0A0E0FB0
	v_mul_f32_e32 v8, v176, v8                                 // 00000000B468: 0A1011B0
	v_mul_f32_e32 v9, v176, v9                                 // 00000000B46C: 0A1213B0
	v_mul_f32_e32 v10, v176, v10                               // 00000000B470: 0A1415B0
	v_mul_f32_e32 v11, v176, v11                               // 00000000B474: 0A1617B0
	v_mul_f32_e32 v12, v176, v12                               // 00000000B478: 0A1819B0
	v_mul_f32_e32 v13, v176, v13                               // 00000000B47C: 0A1A1BB0
	v_mul_f32_e32 v14, v176, v14                               // 00000000B480: 0A1C1DB0
	v_mul_f32_e32 v15, v176, v15                               // 00000000B484: 0A1E1FB0
	v_mul_f32_e32 v16, v176, v16                               // 00000000B488: 0A2021B0
	v_mul_f32_e32 v17, v176, v17                               // 00000000B48C: 0A2223B0
	v_mul_f32_e32 v18, v176, v18                               // 00000000B490: 0A2425B0
	v_mul_f32_e32 v19, v176, v19                               // 00000000B494: 0A2627B0
	v_mul_f32_e32 v20, v177, v20                               // 00000000B498: 0A2829B1
	v_mul_f32_e32 v21, v177, v21                               // 00000000B49C: 0A2A2BB1
	v_mul_f32_e32 v22, v177, v22                               // 00000000B4A0: 0A2C2DB1
	v_mul_f32_e32 v23, v177, v23                               // 00000000B4A4: 0A2E2FB1
	v_mul_f32_e32 v24, v177, v24                               // 00000000B4A8: 0A3031B1
	v_mul_f32_e32 v25, v177, v25                               // 00000000B4AC: 0A3233B1
	v_mul_f32_e32 v26, v177, v26                               // 00000000B4B0: 0A3435B1
	v_mul_f32_e32 v27, v177, v27                               // 00000000B4B4: 0A3637B1
	v_mul_f32_e32 v28, v177, v28                               // 00000000B4B8: 0A3839B1
	v_mul_f32_e32 v29, v177, v29                               // 00000000B4BC: 0A3A3BB1
	v_mul_f32_e32 v30, v177, v30                               // 00000000B4C0: 0A3C3DB1
	v_mul_f32_e32 v31, v177, v31                               // 00000000B4C4: 0A3E3FB1
	v_mul_f32_e32 v32, v177, v32                               // 00000000B4C8: 0A4041B1
	v_mul_f32_e32 v33, v177, v33                               // 00000000B4CC: 0A4243B1
	v_mul_f32_e32 v34, v177, v34                               // 00000000B4D0: 0A4445B1
	v_mul_f32_e32 v35, v177, v35                               // 00000000B4D4: 0A4647B1
	v_mul_f32_e32 v36, v178, v36                               // 00000000B4D8: 0A4849B2
	v_mul_f32_e32 v37, v178, v37                               // 00000000B4DC: 0A4A4BB2
	v_mul_f32_e32 v38, v178, v38                               // 00000000B4E0: 0A4C4DB2
	v_mul_f32_e32 v39, v178, v39                               // 00000000B4E4: 0A4E4FB2
	v_mul_f32_e32 v40, v178, v40                               // 00000000B4E8: 0A5051B2
	v_mul_f32_e32 v41, v178, v41                               // 00000000B4EC: 0A5253B2
	v_mul_f32_e32 v42, v178, v42                               // 00000000B4F0: 0A5455B2
	v_mul_f32_e32 v43, v178, v43                               // 00000000B4F4: 0A5657B2
	v_mul_f32_e32 v44, v178, v44                               // 00000000B4F8: 0A5859B2
	v_mul_f32_e32 v45, v178, v45                               // 00000000B4FC: 0A5A5BB2
	v_mul_f32_e32 v46, v178, v46                               // 00000000B500: 0A5C5DB2
	v_mul_f32_e32 v47, v178, v47                               // 00000000B504: 0A5E5FB2
	v_mul_f32_e32 v48, v178, v48                               // 00000000B508: 0A6061B2
	v_mul_f32_e32 v49, v178, v49                               // 00000000B50C: 0A6263B2
	v_mul_f32_e32 v50, v178, v50                               // 00000000B510: 0A6465B2
	v_mul_f32_e32 v51, v178, v51                               // 00000000B514: 0A6667B2
	v_mul_f32_e32 v52, v179, v52                               // 00000000B518: 0A6869B3
	v_mul_f32_e32 v53, v179, v53                               // 00000000B51C: 0A6A6BB3
	v_mul_f32_e32 v54, v179, v54                               // 00000000B520: 0A6C6DB3
	v_mul_f32_e32 v55, v179, v55                               // 00000000B524: 0A6E6FB3
	v_mul_f32_e32 v56, v179, v56                               // 00000000B528: 0A7071B3
	v_mul_f32_e32 v57, v179, v57                               // 00000000B52C: 0A7273B3
	v_mul_f32_e32 v58, v179, v58                               // 00000000B530: 0A7475B3
	v_mul_f32_e32 v59, v179, v59                               // 00000000B534: 0A7677B3
	v_mul_f32_e32 v60, v179, v60                               // 00000000B538: 0A7879B3
	v_mul_f32_e32 v61, v179, v61                               // 00000000B53C: 0A7A7BB3
	v_mul_f32_e32 v62, v179, v62                               // 00000000B540: 0A7C7DB3
	v_mul_f32_e32 v63, v179, v63                               // 00000000B544: 0A7E7FB3
	v_mul_f32_e32 v64, v179, v64                               // 00000000B548: 0A8081B3
	v_mul_f32_e32 v65, v179, v65                               // 00000000B54C: 0A8283B3
	v_mul_f32_e32 v66, v179, v66                               // 00000000B550: 0A8485B3
	v_mul_f32_e32 v67, v179, v67                               // 00000000B554: 0A8687B3
	v_cvt_pk_fp8_f32 v4, v4, v5                                // 00000000B558: D2A20004 00020B04
	v_cvt_pk_fp8_f32 v4, v6, v7 op_sel:[0,0,1]                 // 00000000B560: D2A24004 00020F06
	v_cvt_pk_fp8_f32 v5, v8, v9                                // 00000000B568: D2A20005 00021308
	v_cvt_pk_fp8_f32 v5, v10, v11 op_sel:[0,0,1]               // 00000000B570: D2A24005 0002170A
	v_cvt_pk_fp8_f32 v6, v12, v13                              // 00000000B578: D2A20006 00021B0C
	v_cvt_pk_fp8_f32 v6, v14, v15 op_sel:[0,0,1]               // 00000000B580: D2A24006 00021F0E
	v_cvt_pk_fp8_f32 v7, v16, v17                              // 00000000B588: D2A20007 00022310
	v_cvt_pk_fp8_f32 v7, v18, v19 op_sel:[0,0,1]               // 00000000B590: D2A24007 00022712
	v_cvt_pk_fp8_f32 v8, v20, v21                              // 00000000B598: D2A20008 00022B14
	v_cvt_pk_fp8_f32 v8, v22, v23 op_sel:[0,0,1]               // 00000000B5A0: D2A24008 00022F16
	v_cvt_pk_fp8_f32 v9, v24, v25                              // 00000000B5A8: D2A20009 00023318
	v_cvt_pk_fp8_f32 v9, v26, v27 op_sel:[0,0,1]               // 00000000B5B0: D2A24009 0002371A
	v_cvt_pk_fp8_f32 v10, v28, v29                             // 00000000B5B8: D2A2000A 00023B1C
	v_cvt_pk_fp8_f32 v10, v30, v31 op_sel:[0,0,1]              // 00000000B5C0: D2A2400A 00023F1E
	v_cvt_pk_fp8_f32 v11, v32, v33                             // 00000000B5C8: D2A2000B 00024320
	v_cvt_pk_fp8_f32 v11, v34, v35 op_sel:[0,0,1]              // 00000000B5D0: D2A2400B 00024722
	v_cvt_pk_fp8_f32 v12, v36, v37                             // 00000000B5D8: D2A2000C 00024B24
	v_cvt_pk_fp8_f32 v12, v38, v39 op_sel:[0,0,1]              // 00000000B5E0: D2A2400C 00024F26
	v_cvt_pk_fp8_f32 v13, v40, v41                             // 00000000B5E8: D2A2000D 00025328
	v_cvt_pk_fp8_f32 v13, v42, v43 op_sel:[0,0,1]              // 00000000B5F0: D2A2400D 0002572A
	v_cvt_pk_fp8_f32 v14, v44, v45                             // 00000000B5F8: D2A2000E 00025B2C
	v_cvt_pk_fp8_f32 v14, v46, v47 op_sel:[0,0,1]              // 00000000B600: D2A2400E 00025F2E
	v_cvt_pk_fp8_f32 v15, v48, v49                             // 00000000B608: D2A2000F 00026330
	v_cvt_pk_fp8_f32 v15, v50, v51 op_sel:[0,0,1]              // 00000000B610: D2A2400F 00026732
	v_cvt_pk_fp8_f32 v16, v52, v53                             // 00000000B618: D2A20010 00026B34
	v_cvt_pk_fp8_f32 v16, v54, v55 op_sel:[0,0,1]              // 00000000B620: D2A24010 00026F36
	v_cvt_pk_fp8_f32 v17, v56, v57                             // 00000000B628: D2A20011 00027338
	v_cvt_pk_fp8_f32 v17, v58, v59 op_sel:[0,0,1]              // 00000000B630: D2A24011 0002773A
	v_cvt_pk_fp8_f32 v18, v60, v61                             // 00000000B638: D2A20012 00027B3C
	v_cvt_pk_fp8_f32 v18, v62, v63 op_sel:[0,0,1]              // 00000000B640: D2A24012 00027F3E
	v_cvt_pk_fp8_f32 v19, v64, v65                             // 00000000B648: D2A20013 00028340
	v_cvt_pk_fp8_f32 v19, v66, v67 op_sel:[0,0,1]              // 00000000B650: D2A24013 00028742
	ds_write_b32 v249, v4 offset:8192                          // 00000000B658: D81A2000 000004F9
	ds_write_b32 v249, v5 offset:9216                          // 00000000B660: D81A2400 000005F9
	ds_write_b32 v249, v6 offset:10240                         // 00000000B668: D81A2800 000006F9
	ds_write_b32 v249, v7 offset:11264                         // 00000000B670: D81A2C00 000007F9
	ds_write_b32 v249, v8 offset:12288                         // 00000000B678: D81A3000 000008F9
	ds_write_b32 v249, v9 offset:13312                         // 00000000B680: D81A3400 000009F9
	ds_write_b32 v249, v10 offset:14336                        // 00000000B688: D81A3800 00000AF9
	ds_write_b32 v249, v11 offset:15360                        // 00000000B690: D81A3C00 00000BF9
	ds_write_b32 v249, v12 offset:16384                        // 00000000B698: D81A4000 00000CF9
	ds_write_b32 v249, v13 offset:17408                        // 00000000B6A0: D81A4400 00000DF9
	ds_write_b32 v249, v14 offset:18432                        // 00000000B6A8: D81A4800 00000EF9
	ds_write_b32 v249, v15 offset:19456                        // 00000000B6B0: D81A4C00 00000FF9
	ds_write_b32 v249, v16 offset:20480                        // 00000000B6B8: D81A5000 000010F9
	ds_write_b32 v249, v17 offset:21504                        // 00000000B6C0: D81A5400 000011F9
	ds_write_b32 v249, v18 offset:22528                        // 00000000B6C8: D81A5800 000012F9
	ds_write_b32 v249, v19 offset:23552                        // 00000000B6D0: D81A5C00 000013F9
	v_rcp_f32_e32 v144, v176                                   // 00000000B6D8: 7F2045B0
	v_rcp_f32_e32 v146, v177                                   // 00000000B6DC: 7F2445B1
	v_rcp_f32_e32 v148, v178                                   // 00000000B6E0: 7F2845B2
	v_rcp_f32_e32 v150, v179                                   // 00000000B6E4: 7F2C45B3
	v_mov_b32_e32 v145, v144                                   // 00000000B6E8: 7F220390
	v_mov_b32_e32 v147, v146                                   // 00000000B6EC: 7F260392
	v_mov_b32_e32 v149, v148                                   // 00000000B6F0: 7F2A0394
	v_mov_b32_e32 v151, v150                                   // 00000000B6F4: 7F2E0396
	v_pk_add_f32 v[100:101], v[100:101], v[68:69]              // 00000000B6F8: D3B24064 18028964
	v_pk_add_f32 v[102:103], v[102:103], v[70:71]              // 00000000B700: D3B24066 18028D66
	v_pk_add_f32 v[104:105], v[104:105], v[72:73]              // 00000000B708: D3B24068 18029168
	v_pk_add_f32 v[106:107], v[106:107], v[74:75]              // 00000000B710: D3B2406A 1802956A
	v_pk_add_f32 v[108:109], v[108:109], v[76:77]              // 00000000B718: D3B2406C 1802996C
	v_pk_add_f32 v[110:111], v[110:111], v[78:79]              // 00000000B720: D3B2406E 18029D6E
	v_pk_add_f32 v[112:113], v[112:113], v[80:81]              // 00000000B728: D3B24070 1802A170
	v_pk_add_f32 v[114:115], v[114:115], v[82:83]              // 00000000B730: D3B24072 1802A572
	v_pk_add_f32 v[116:117], v[116:117], v[84:85]              // 00000000B738: D3B24074 1802A974
	v_pk_add_f32 v[118:119], v[118:119], v[86:87]              // 00000000B740: D3B24076 1802AD76
	v_pk_add_f32 v[120:121], v[120:121], v[88:89]              // 00000000B748: D3B24078 1802B178
	v_pk_add_f32 v[122:123], v[122:123], v[90:91]              // 00000000B750: D3B2407A 1802B57A
	v_pk_add_f32 v[124:125], v[124:125], v[92:93]              // 00000000B758: D3B2407C 1802B97C
	v_pk_add_f32 v[126:127], v[126:127], v[94:95]              // 00000000B760: D3B2407E 1802BD7E
	v_pk_add_f32 v[128:129], v[128:129], v[96:97]              // 00000000B768: D3B24080 1802C180
	v_pk_add_f32 v[130:131], v[130:131], v[98:99]              // 00000000B770: D3B24082 1802C582
	s_waitcnt lgkmcnt(0)                                       // 00000000B778: BF8CC07F
	s_barrier                                                  // 00000000B77C: BF8A0000
	ds_read_b128 v[4:7], v250 offset:8192                      // 00000000B780: D9FE2000 040000FA
	ds_read_b128 v[8:11], v250 offset:9216                     // 00000000B788: D9FE2400 080000FA
	ds_read_b128 v[12:15], v250 offset:10240                   // 00000000B790: D9FE2800 0C0000FA
	ds_read_b128 v[16:19], v250 offset:11264                   // 00000000B798: D9FE2C00 100000FA
	ds_read_b128 v[20:23], v250 offset:12288                   // 00000000B7A0: D9FE3000 140000FA
	ds_read_b128 v[24:27], v250 offset:13312                   // 00000000B7A8: D9FE3400 180000FA
	ds_read_b128 v[28:31], v250 offset:14336                   // 00000000B7B0: D9FE3800 1C0000FA
	ds_read_b128 v[32:35], v250 offset:15360                   // 00000000B7B8: D9FE3C00 200000FA
	ds_read_b128 v[36:39], v250 offset:16384                   // 00000000B7C0: D9FE4000 240000FA
	ds_read_b128 v[40:43], v250 offset:17408                   // 00000000B7C8: D9FE4400 280000FA
	ds_read_b128 v[44:47], v250 offset:18432                   // 00000000B7D0: D9FE4800 2C0000FA
	ds_read_b128 v[48:51], v250 offset:19456                   // 00000000B7D8: D9FE4C00 300000FA
	ds_read_b128 v[52:55], v250 offset:20480                   // 00000000B7E0: D9FE5000 340000FA
	ds_read_b128 v[56:59], v250 offset:21504                   // 00000000B7E8: D9FE5400 380000FA
	ds_read_b128 v[60:63], v250 offset:22528                   // 00000000B7F0: D9FE5800 3C0000FA
	ds_read_b128 v[64:67], v250 offset:23552                   // 00000000B7F8: D9FE5C00 400000FA
	s_waitcnt vmcnt(10)                                        // 00000000B800: BF8C0F7A
	s_waitcnt vmcnt(63) expcnt(7) lgkmcnt(15)                  // 00000000B804: BF8CCF7F
	v_mfma_f32_16x16x32_fp8_fp8 v[68:71], a[128:129], v[4:5], 0// 00000000B808: D3F30044 0A020980
	v_mfma_f32_16x16x32_fp8_fp8 v[72:75], a[144:145], v[4:5], 0// 00000000B810: D3F30048 0A020990
	v_mfma_f32_16x16x32_fp8_fp8 v[68:71], a[130:131], v[6:7], v[68:71]// 00000000B818: D3F30044 0D120D82
	buffer_load_dwordx4 a[96:99], v227, s[16:19], 0 offen      // 00000000B820: E05C1000 808460E3
	v_mfma_f32_16x16x32_fp8_fp8 v[72:75], a[146:147], v[6:7], v[72:75]// 00000000B828: D3F30048 0D220D92
	s_waitcnt lgkmcnt(14)                                      // 00000000B830: BF8CCE7F
	v_mfma_f32_16x16x32_fp8_fp8 v[68:71], a[132:133], v[8:9], v[68:71]// 00000000B834: D3F30044 0D121184
	v_mfma_f32_16x16x32_fp8_fp8 v[72:75], a[148:149], v[8:9], v[72:75]// 00000000B83C: D3F30048 0D221194
	v_mfma_f32_16x16x32_fp8_fp8 v[68:71], a[134:135], v[10:11], v[68:71]// 00000000B844: D3F30044 0D121586
	buffer_load_dwordx4 a[100:103], v228, s[16:19], 0 offen    // 00000000B84C: E05C1000 808464E4
	v_mfma_f32_16x16x32_fp8_fp8 v[72:75], a[150:151], v[10:11], v[72:75]// 00000000B854: D3F30048 0D221596
	s_waitcnt lgkmcnt(13)                                      // 00000000B85C: BF8CCD7F
	v_mfma_f32_16x16x32_fp8_fp8 v[68:71], a[136:137], v[12:13], v[68:71]// 00000000B860: D3F30044 0D121988
	v_mfma_f32_16x16x32_fp8_fp8 v[72:75], a[152:153], v[12:13], v[72:75]// 00000000B868: D3F30048 0D221998
	v_mfma_f32_16x16x32_fp8_fp8 v[68:71], a[138:139], v[14:15], v[68:71]// 00000000B870: D3F30044 0D121D8A
	buffer_load_dwordx4 a[104:107], v229, s[16:19], 0 offen    // 00000000B878: E05C1000 808468E5
	v_mfma_f32_16x16x32_fp8_fp8 v[72:75], a[154:155], v[14:15], v[72:75]// 00000000B880: D3F30048 0D221D9A
	s_waitcnt lgkmcnt(12)                                      // 00000000B888: BF8CCC7F
	v_mfma_f32_16x16x32_fp8_fp8 v[68:71], a[140:141], v[16:17], v[68:71]// 00000000B88C: D3F30044 0D12218C
	v_mfma_f32_16x16x32_fp8_fp8 v[72:75], a[156:157], v[16:17], v[72:75]// 00000000B894: D3F30048 0D22219C
	v_mfma_f32_16x16x32_fp8_fp8 v[68:71], a[142:143], v[18:19], v[68:71]// 00000000B89C: D3F30044 0D12258E
	buffer_load_dwordx4 a[108:111], v230, s[16:19], 0 offen    // 00000000B8A4: E05C1000 80846CE6
	v_mfma_f32_16x16x32_fp8_fp8 v[72:75], a[158:159], v[18:19], v[72:75]// 00000000B8AC: D3F30048 0D22259E
	s_waitcnt lgkmcnt(11)                                      // 00000000B8B4: BF8CCB7F
	v_mfma_f32_16x16x32_fp8_fp8 v[76:79], a[128:129], v[20:21], 0// 00000000B8B8: D3F3004C 0A022980
	v_mfma_f32_16x16x32_fp8_fp8 v[80:83], a[144:145], v[20:21], 0// 00000000B8C0: D3F30050 0A022990
	v_mfma_f32_16x16x32_fp8_fp8 v[76:79], a[130:131], v[22:23], v[76:79]// 00000000B8C8: D3F3004C 0D322D82
	buffer_load_dwordx4 a[112:115], v227, s[16:19], 0 offen offset:1024// 00000000B8D0: E05C1400 808470E3
	v_mfma_f32_16x16x32_fp8_fp8 v[80:83], a[146:147], v[22:23], v[80:83]// 00000000B8D8: D3F30050 0D422D92
	s_waitcnt lgkmcnt(10)                                      // 00000000B8E0: BF8CCA7F
	v_mfma_f32_16x16x32_fp8_fp8 v[76:79], a[132:133], v[24:25], v[76:79]// 00000000B8E4: D3F3004C 0D323184
	v_mfma_f32_16x16x32_fp8_fp8 v[80:83], a[148:149], v[24:25], v[80:83]// 00000000B8EC: D3F30050 0D423194
	v_mfma_f32_16x16x32_fp8_fp8 v[76:79], a[134:135], v[26:27], v[76:79]// 00000000B8F4: D3F3004C 0D323586
	buffer_load_dwordx4 a[116:119], v228, s[16:19], 0 offen offset:1024// 00000000B8FC: E05C1400 808474E4
	v_mfma_f32_16x16x32_fp8_fp8 v[80:83], a[150:151], v[26:27], v[80:83]// 00000000B904: D3F30050 0D423596
	s_waitcnt lgkmcnt(9)                                       // 00000000B90C: BF8CC97F
	v_mfma_f32_16x16x32_fp8_fp8 v[76:79], a[136:137], v[28:29], v[76:79]// 00000000B910: D3F3004C 0D323988
	v_mfma_f32_16x16x32_fp8_fp8 v[80:83], a[152:153], v[28:29], v[80:83]// 00000000B918: D3F30050 0D423998
	v_mfma_f32_16x16x32_fp8_fp8 v[76:79], a[138:139], v[30:31], v[76:79]// 00000000B920: D3F3004C 0D323D8A
	buffer_load_dwordx4 a[120:123], v229, s[16:19], 0 offen offset:1024// 00000000B928: E05C1400 808478E5
	v_mfma_f32_16x16x32_fp8_fp8 v[80:83], a[154:155], v[30:31], v[80:83]// 00000000B930: D3F30050 0D423D9A
	s_waitcnt lgkmcnt(8)                                       // 00000000B938: BF8CC87F
	v_mfma_f32_16x16x32_fp8_fp8 v[76:79], a[140:141], v[32:33], v[76:79]// 00000000B93C: D3F3004C 0D32418C
	v_mfma_f32_16x16x32_fp8_fp8 v[80:83], a[156:157], v[32:33], v[80:83]// 00000000B944: D3F30050 0D42419C
	v_mfma_f32_16x16x32_fp8_fp8 v[76:79], a[142:143], v[34:35], v[76:79]// 00000000B94C: D3F3004C 0D32458E
	buffer_load_dwordx4 a[124:127], v230, s[16:19], 0 offen offset:1024// 00000000B954: E05C1400 80847CE6
	v_mfma_f32_16x16x32_fp8_fp8 v[80:83], a[158:159], v[34:35], v[80:83]// 00000000B95C: D3F30050 0D42459E
	s_waitcnt lgkmcnt(7)                                       // 00000000B964: BF8CC77F
	v_mfma_f32_16x16x32_fp8_fp8 v[84:87], a[128:129], v[36:37], 0// 00000000B968: D3F30054 0A024980
	v_mfma_f32_16x16x32_fp8_fp8 v[88:91], a[144:145], v[36:37], 0// 00000000B970: D3F30058 0A024990
	v_mfma_f32_16x16x32_fp8_fp8 v[84:87], a[130:131], v[38:39], v[84:87]// 00000000B978: D3F30054 0D524D82
	v_mfma_f32_16x16x32_fp8_fp8 v[88:91], a[146:147], v[38:39], v[88:91]// 00000000B980: D3F30058 0D624D92
	s_waitcnt lgkmcnt(6)                                       // 00000000B988: BF8CC67F
	v_mfma_f32_16x16x32_fp8_fp8 v[84:87], a[132:133], v[40:41], v[84:87]// 00000000B98C: D3F30054 0D525184
	v_mfma_f32_16x16x32_fp8_fp8 v[88:91], a[148:149], v[40:41], v[88:91]// 00000000B994: D3F30058 0D625194
	v_mfma_f32_16x16x32_fp8_fp8 v[84:87], a[134:135], v[42:43], v[84:87]// 00000000B99C: D3F30054 0D525586
	v_mfma_f32_16x16x32_fp8_fp8 v[88:91], a[150:151], v[42:43], v[88:91]// 00000000B9A4: D3F30058 0D625596
	s_waitcnt lgkmcnt(5)                                       // 00000000B9AC: BF8CC57F
	v_mfma_f32_16x16x32_fp8_fp8 v[84:87], a[136:137], v[44:45], v[84:87]// 00000000B9B0: D3F30054 0D525988
	v_mfma_f32_16x16x32_fp8_fp8 v[88:91], a[152:153], v[44:45], v[88:91]// 00000000B9B8: D3F30058 0D625998
	v_mfma_f32_16x16x32_fp8_fp8 v[84:87], a[138:139], v[46:47], v[84:87]// 00000000B9C0: D3F30054 0D525D8A
	v_mfma_f32_16x16x32_fp8_fp8 v[88:91], a[154:155], v[46:47], v[88:91]// 00000000B9C8: D3F30058 0D625D9A
	s_waitcnt lgkmcnt(4)                                       // 00000000B9D0: BF8CC47F
	v_mfma_f32_16x16x32_fp8_fp8 v[84:87], a[140:141], v[48:49], v[84:87]// 00000000B9D4: D3F30054 0D52618C
	v_mfma_f32_16x16x32_fp8_fp8 v[88:91], a[156:157], v[48:49], v[88:91]// 00000000B9DC: D3F30058 0D62619C
	v_mfma_f32_16x16x32_fp8_fp8 v[84:87], a[142:143], v[50:51], v[84:87]// 00000000B9E4: D3F30054 0D52658E
	v_mfma_f32_16x16x32_fp8_fp8 v[88:91], a[158:159], v[50:51], v[88:91]// 00000000B9EC: D3F30058 0D62659E
	s_waitcnt lgkmcnt(3)                                       // 00000000B9F4: BF8CC37F
	v_mfma_f32_16x16x32_fp8_fp8 v[92:95], a[128:129], v[52:53], 0// 00000000B9F8: D3F3005C 0A026980
	v_mfma_f32_16x16x32_fp8_fp8 v[96:99], a[144:145], v[52:53], 0// 00000000BA00: D3F30060 0A026990
	v_mfma_f32_16x16x32_fp8_fp8 v[92:95], a[130:131], v[54:55], v[92:95]// 00000000BA08: D3F3005C 0D726D82
	v_mfma_f32_16x16x32_fp8_fp8 v[96:99], a[146:147], v[54:55], v[96:99]// 00000000BA10: D3F30060 0D826D92
	s_waitcnt lgkmcnt(2)                                       // 00000000BA18: BF8CC27F
	v_mfma_f32_16x16x32_fp8_fp8 v[92:95], a[132:133], v[56:57], v[92:95]// 00000000BA1C: D3F3005C 0D727184
	v_mfma_f32_16x16x32_fp8_fp8 v[96:99], a[148:149], v[56:57], v[96:99]// 00000000BA24: D3F30060 0D827194
	v_mfma_f32_16x16x32_fp8_fp8 v[92:95], a[134:135], v[58:59], v[92:95]// 00000000BA2C: D3F3005C 0D727586
	v_mfma_f32_16x16x32_fp8_fp8 v[96:99], a[150:151], v[58:59], v[96:99]// 00000000BA34: D3F30060 0D827596
	s_waitcnt lgkmcnt(1)                                       // 00000000BA3C: BF8CC17F
	v_mfma_f32_16x16x32_fp8_fp8 v[92:95], a[136:137], v[60:61], v[92:95]// 00000000BA40: D3F3005C 0D727988
	v_mfma_f32_16x16x32_fp8_fp8 v[96:99], a[152:153], v[60:61], v[96:99]// 00000000BA48: D3F30060 0D827998
	v_mfma_f32_16x16x32_fp8_fp8 v[92:95], a[138:139], v[62:63], v[92:95]// 00000000BA50: D3F3005C 0D727D8A
	v_mfma_f32_16x16x32_fp8_fp8 v[96:99], a[154:155], v[62:63], v[96:99]// 00000000BA58: D3F30060 0D827D9A
	s_waitcnt lgkmcnt(0)                                       // 00000000BA60: BF8CC07F
	v_mfma_f32_16x16x32_fp8_fp8 v[92:95], a[140:141], v[64:65], v[92:95]// 00000000BA64: D3F3005C 0D72818C
	v_mfma_f32_16x16x32_fp8_fp8 v[96:99], a[156:157], v[64:65], v[96:99]// 00000000BA6C: D3F30060 0D82819C
	v_mfma_f32_16x16x32_fp8_fp8 v[92:95], a[142:143], v[66:67], v[92:95]// 00000000BA74: D3F3005C 0D72858E
	v_mfma_f32_16x16x32_fp8_fp8 v[96:99], a[158:159], v[66:67], v[96:99]// 00000000BA7C: D3F30060 0D82859E
	s_addk_i32 s64, 0x100                                      // 00000000BA84: B7400100
	s_cmp_lt_i32 s64, s63                                      // 00000000BA88: BF043F40
	s_cbranch_scc0 label_4200                                  // 00000000BA8C: BF841CDC
	s_waitcnt vmcnt(10)                                        // 00000000BA90: BF8C0F7A
	v_mfma_f32_16x16x32_fp8_fp8 v[4:7], a[32:33], a[0:1], 0    // 00000000BA94: D3F30004 1A020120
	s_add_u32 s12, s86, s69                                    // 00000000BA9C: 800C4556
	s_addc_u32 s13, s87, 0                                     // 00000000BAA0: 820D8057
	v_mfma_f32_16x16x32_fp8_fp8 v[4:7], a[34:35], a[2:3], v[4:7]// 00000000BAA4: D3F30004 1C120522
	s_add_u32 s16, s88, s70                                    // 00000000BAAC: 80104658
	s_addc_u32 s17, s89, 0                                     // 00000000BAB0: 82118059
	v_mfma_f32_16x16x32_fp8_fp8 v[4:7], a[36:37], a[4:5], v[4:7]// 00000000BAB4: D3F30004 1C120924
	buffer_load_dwordx4 a[64:67], v225, s[12:15], 0 offen      // 00000000BABC: E05C1000 808340E1
	v_mfma_f32_16x16x32_fp8_fp8 v[4:7], a[38:39], a[6:7], v[4:7]// 00000000BAC4: D3F30004 1C120D26
	s_add_u32 s20, s90, s71                                    // 00000000BACC: 8014475A
	s_addc_u32 s21, s91, 0                                     // 00000000BAD0: 8215805B
	v_mfma_f32_16x16x32_fp8_fp8 v[8:11], a[40:41], a[0:1], 0   // 00000000BAD4: D3F30008 1A020128
	s_add_u32 s24, s92, s71                                    // 00000000BADC: 8018475C
	s_addc_u32 s25, s93, 0                                     // 00000000BAE0: 8219805D
	v_mfma_f32_16x16x32_fp8_fp8 v[8:11], a[42:43], a[2:3], v[8:11]// 00000000BAE4: D3F30008 1C22052A
	s_mul_i32 s69, s59, s50                                    // 00000000BAEC: 9245323B
	s_mul_i32 s71, s59, s66                                    // 00000000BAF0: 9247423B
	v_mfma_f32_16x16x32_fp8_fp8 v[8:11], a[44:45], a[4:5], v[8:11]// 00000000BAF4: D3F30008 1C22092C
	buffer_load_dwordx4 a[68:71], v226, s[12:15], 0 offen      // 00000000BAFC: E05C1000 808344E2
	v_mfma_f32_16x16x32_fp8_fp8 v[8:11], a[46:47], a[6:7], v[8:11]// 00000000BB04: D3F30008 1C220D2E
	s_mul_i32 s54, s78, s51                                    // 00000000BB0C: 9236334E
	s_add_u32 s69, s69, s54                                    // 00000000BB10: 80453645
	v_mfma_f32_16x16x32_fp8_fp8 v[12:15], a[48:49], a[0:1], 0  // 00000000BB14: D3F3000C 1A020130
	s_mov_b32 s70, s69                                         // 00000000BB1C: BEC60045
	v_mfma_f32_16x16x32_fp8_fp8 v[12:15], a[50:51], a[2:3], v[12:15]// 00000000BB20: D3F3000C 1C320532
	s_mul_i32 s54, s78, 4                                      // 00000000BB28: 9236844E
	s_add_u32 s71, s71, s54                                    // 00000000BB2C: 80473647
	v_mfma_f32_16x16x32_fp8_fp8 v[12:15], a[52:53], a[4:5], v[12:15]// 00000000BB30: D3F3000C 1C320934
	buffer_load_dwordx4 a[72:75], v225, s[12:15], 0 offen offset:1024// 00000000BB38: E05C1400 808348E1
	v_mfma_f32_16x16x32_fp8_fp8 v[12:15], a[54:55], a[6:7], v[12:15]// 00000000BB40: D3F3000C 1C320D36
	v_mfma_f32_16x16x32_fp8_fp8 v[16:19], a[56:57], a[0:1], 0  // 00000000BB48: D3F30010 1A020138
	v_mfma_f32_16x16x32_fp8_fp8 v[16:19], a[58:59], a[2:3], v[16:19]// 00000000BB50: D3F30010 1C42053A
	v_mfma_f32_16x16x32_fp8_fp8 v[16:19], a[60:61], a[4:5], v[16:19]// 00000000BB58: D3F30010 1C42093C
	buffer_load_dwordx4 a[76:79], v226, s[12:15], 0 offen offset:1024// 00000000BB60: E05C1400 80834CE2
	v_mfma_f32_16x16x32_fp8_fp8 v[16:19], a[62:63], a[6:7], v[16:19]// 00000000BB68: D3F30010 1C420D3E
	v_mfma_f32_16x16x32_fp8_fp8 v[20:23], a[32:33], a[8:9], 0  // 00000000BB70: D3F30014 1A021120
	v_mfma_f32_16x16x32_fp8_fp8 v[20:23], a[34:35], a[10:11], v[20:23]// 00000000BB78: D3F30014 1C521522
	v_mfma_f32_16x16x32_fp8_fp8 v[20:23], a[36:37], a[12:13], v[20:23]// 00000000BB80: D3F30014 1C521924
	buffer_load_dwordx4 a[80:83], v225, s[12:15], 0 offen offset:2048// 00000000BB88: E05C1800 808350E1
	v_mfma_f32_16x16x32_fp8_fp8 v[20:23], a[38:39], a[14:15], v[20:23]// 00000000BB90: D3F30014 1C521D26
	v_mfma_f32_16x16x32_fp8_fp8 v[24:27], a[40:41], a[8:9], 0  // 00000000BB98: D3F30018 1A021128
	v_mfma_f32_16x16x32_fp8_fp8 v[24:27], a[42:43], a[10:11], v[24:27]// 00000000BBA0: D3F30018 1C62152A
	v_mfma_f32_16x16x32_fp8_fp8 v[24:27], a[44:45], a[12:13], v[24:27]// 00000000BBA8: D3F30018 1C62192C
	buffer_load_dwordx4 a[84:87], v226, s[12:15], 0 offen offset:2048// 00000000BBB0: E05C1800 808354E2
	v_mfma_f32_16x16x32_fp8_fp8 v[24:27], a[46:47], a[14:15], v[24:27]// 00000000BBB8: D3F30018 1C621D2E
	v_mfma_f32_16x16x32_fp8_fp8 v[28:31], a[48:49], a[8:9], 0  // 00000000BBC0: D3F3001C 1A021130
	v_mfma_f32_16x16x32_fp8_fp8 v[28:31], a[50:51], a[10:11], v[28:31]// 00000000BBC8: D3F3001C 1C721532
	v_mfma_f32_16x16x32_fp8_fp8 v[28:31], a[52:53], a[12:13], v[28:31]// 00000000BBD0: D3F3001C 1C721934
	buffer_load_dwordx4 a[88:91], v225, s[12:15], 0 offen offset:3072// 00000000BBD8: E05C1C00 808358E1
	v_mfma_f32_16x16x32_fp8_fp8 v[28:31], a[54:55], a[14:15], v[28:31]// 00000000BBE0: D3F3001C 1C721D36
	v_mfma_f32_16x16x32_fp8_fp8 v[32:35], a[56:57], a[8:9], 0  // 00000000BBE8: D3F30020 1A021138
	v_mfma_f32_16x16x32_fp8_fp8 v[32:35], a[58:59], a[10:11], v[32:35]// 00000000BBF0: D3F30020 1C82153A
	v_mfma_f32_16x16x32_fp8_fp8 v[32:35], a[60:61], a[12:13], v[32:35]// 00000000BBF8: D3F30020 1C82193C
	buffer_load_dwordx4 a[92:95], v226, s[12:15], 0 offen offset:3072// 00000000BC00: E05C1C00 80835CE2
	v_mfma_f32_16x16x32_fp8_fp8 v[32:35], a[62:63], a[14:15], v[32:35]// 00000000BC08: D3F30020 1C821D3E
	v_mfma_f32_16x16x32_fp8_fp8 v[36:39], a[32:33], a[16:17], 0// 00000000BC10: D3F30024 1A022120
	v_mfma_f32_16x16x32_fp8_fp8 v[36:39], a[34:35], a[18:19], v[36:39]// 00000000BC18: D3F30024 1C922522
	v_mfma_f32_16x16x32_fp8_fp8 v[36:39], a[36:37], a[20:21], v[36:39]// 00000000BC20: D3F30024 1C922924
	v_mfma_f32_16x16x32_fp8_fp8 v[36:39], a[38:39], a[22:23], v[36:39]// 00000000BC28: D3F30024 1C922D26
	v_mfma_f32_16x16x32_fp8_fp8 v[40:43], a[40:41], a[16:17], 0// 00000000BC30: D3F30028 1A022128
	v_mfma_f32_16x16x32_fp8_fp8 v[40:43], a[42:43], a[18:19], v[40:43]// 00000000BC38: D3F30028 1CA2252A
	v_mfma_f32_16x16x32_fp8_fp8 v[40:43], a[44:45], a[20:21], v[40:43]// 00000000BC40: D3F30028 1CA2292C
	v_mfma_f32_16x16x32_fp8_fp8 v[40:43], a[46:47], a[22:23], v[40:43]// 00000000BC48: D3F30028 1CA22D2E
	v_mfma_f32_16x16x32_fp8_fp8 v[44:47], a[48:49], a[16:17], 0// 00000000BC50: D3F3002C 1A022130
	v_mfma_f32_16x16x32_fp8_fp8 v[44:47], a[50:51], a[18:19], v[44:47]// 00000000BC58: D3F3002C 1CB22532
	v_mfma_f32_16x16x32_fp8_fp8 v[44:47], a[52:53], a[20:21], v[44:47]// 00000000BC60: D3F3002C 1CB22934
	v_mfma_f32_16x16x32_fp8_fp8 v[44:47], a[54:55], a[22:23], v[44:47]// 00000000BC68: D3F3002C 1CB22D36
	v_mfma_f32_16x16x32_fp8_fp8 v[48:51], a[56:57], a[16:17], 0// 00000000BC70: D3F30030 1A022138
	v_mfma_f32_16x16x32_fp8_fp8 v[48:51], a[58:59], a[18:19], v[48:51]// 00000000BC78: D3F30030 1CC2253A
	v_mfma_f32_16x16x32_fp8_fp8 v[48:51], a[60:61], a[20:21], v[48:51]// 00000000BC80: D3F30030 1CC2293C
	v_mfma_f32_16x16x32_fp8_fp8 v[48:51], a[62:63], a[22:23], v[48:51]// 00000000BC88: D3F30030 1CC22D3E
	v_mfma_f32_16x16x32_fp8_fp8 v[52:55], a[32:33], a[24:25], 0// 00000000BC90: D3F30034 1A023120
	v_mfma_f32_16x16x32_fp8_fp8 v[52:55], a[34:35], a[26:27], v[52:55]// 00000000BC98: D3F30034 1CD23522
	v_mfma_f32_16x16x32_fp8_fp8 v[52:55], a[36:37], a[28:29], v[52:55]// 00000000BCA0: D3F30034 1CD23924
	v_mfma_f32_16x16x32_fp8_fp8 v[52:55], a[38:39], a[30:31], v[52:55]// 00000000BCA8: D3F30034 1CD23D26
	v_mfma_f32_16x16x32_fp8_fp8 v[56:59], a[40:41], a[24:25], 0// 00000000BCB0: D3F30038 1A023128
	v_mfma_f32_16x16x32_fp8_fp8 v[56:59], a[42:43], a[26:27], v[56:59]// 00000000BCB8: D3F30038 1CE2352A
	v_mfma_f32_16x16x32_fp8_fp8 v[56:59], a[44:45], a[28:29], v[56:59]// 00000000BCC0: D3F30038 1CE2392C
	v_mfma_f32_16x16x32_fp8_fp8 v[56:59], a[46:47], a[30:31], v[56:59]// 00000000BCC8: D3F30038 1CE23D2E
	v_mfma_f32_16x16x32_fp8_fp8 v[60:63], a[48:49], a[24:25], 0// 00000000BCD0: D3F3003C 1A023130
	v_mfma_f32_16x16x32_fp8_fp8 v[60:63], a[50:51], a[26:27], v[60:63]// 00000000BCD8: D3F3003C 1CF23532
	v_mfma_f32_16x16x32_fp8_fp8 v[60:63], a[52:53], a[28:29], v[60:63]// 00000000BCE0: D3F3003C 1CF23934
	v_mfma_f32_16x16x32_fp8_fp8 v[60:63], a[54:55], a[30:31], v[60:63]// 00000000BCE8: D3F3003C 1CF23D36
	v_mfma_f32_16x16x32_fp8_fp8 v[64:67], a[56:57], a[24:25], 0// 00000000BCF0: D3F30040 1A023138
	v_mfma_f32_16x16x32_fp8_fp8 v[64:67], a[58:59], a[26:27], v[64:67]// 00000000BCF8: D3F30040 1D02353A
	v_mfma_f32_16x16x32_fp8_fp8 v[64:67], a[60:61], a[28:29], v[64:67]// 00000000BD00: D3F30040 1D02393C
	v_mfma_f32_16x16x32_fp8_fp8 v[64:67], a[62:63], a[30:31], v[64:67]// 00000000BD08: D3F30040 1D023D3E
	s_waitcnt vmcnt(16)                                        // 00000000BD10: BF8C4F70
	v_pk_mul_f32 v[4:5], v[132:133], v[4:5]                    // 00000000BD14: D3B14004 18020984
	v_pk_mul_f32 v[6:7], v[132:133], v[6:7]                    // 00000000BD1C: D3B14006 18020D84
	v_mul_f32_dpp v4, v140, v4 row_newbcast:0 row_mask:0xf bank_mask:0xf// 00000000BD24: 0A0808FA FF01508C
	v_mul_f32_dpp v5, v140, v5 row_newbcast:1 row_mask:0xf bank_mask:0xf// 00000000BD2C: 0A0A0AFA FF01518C
	v_mul_f32_dpp v6, v140, v6 row_newbcast:2 row_mask:0xf bank_mask:0xf// 00000000BD34: 0A0C0CFA FF01528C
	v_mul_f32_dpp v7, v140, v7 row_newbcast:3 row_mask:0xf bank_mask:0xf// 00000000BD3C: 0A0E0EFA FF01538C
	v_pk_mul_f32 v[8:9], v[132:133], v[8:9]                    // 00000000BD44: D3B14008 18021184
	v_pk_mul_f32 v[10:11], v[132:133], v[10:11]                // 00000000BD4C: D3B1400A 18021584
	v_mul_f32_dpp v8, v140, v8 row_newbcast:4 row_mask:0xf bank_mask:0xf// 00000000BD54: 0A1010FA FF01548C
	v_mul_f32_dpp v9, v140, v9 row_newbcast:5 row_mask:0xf bank_mask:0xf// 00000000BD5C: 0A1212FA FF01558C
	v_mul_f32_dpp v10, v140, v10 row_newbcast:6 row_mask:0xf bank_mask:0xf// 00000000BD64: 0A1414FA FF01568C
	v_mul_f32_dpp v11, v140, v11 row_newbcast:7 row_mask:0xf bank_mask:0xf// 00000000BD6C: 0A1616FA FF01578C
	v_pk_mul_f32 v[12:13], v[132:133], v[12:13]                // 00000000BD74: D3B1400C 18021984
	v_pk_mul_f32 v[14:15], v[132:133], v[14:15]                // 00000000BD7C: D3B1400E 18021D84
	v_mul_f32_dpp v12, v140, v12 row_newbcast:8 row_mask:0xf bank_mask:0xf// 00000000BD84: 0A1818FA FF01588C
	v_mul_f32_dpp v13, v140, v13 row_newbcast:9 row_mask:0xf bank_mask:0xf// 00000000BD8C: 0A1A1AFA FF01598C
	v_mul_f32_dpp v14, v140, v14 row_newbcast:10 row_mask:0xf bank_mask:0xf// 00000000BD94: 0A1C1CFA FF015A8C
	v_mul_f32_dpp v15, v140, v15 row_newbcast:11 row_mask:0xf bank_mask:0xf// 00000000BD9C: 0A1E1EFA FF015B8C
	v_pk_mul_f32 v[16:17], v[132:133], v[16:17]                // 00000000BDA4: D3B14010 18022184
	v_pk_mul_f32 v[18:19], v[132:133], v[18:19]                // 00000000BDAC: D3B14012 18022584
	v_mul_f32_dpp v16, v140, v16 row_newbcast:12 row_mask:0xf bank_mask:0xf// 00000000BDB4: 0A2020FA FF015C8C
	v_mul_f32_dpp v17, v140, v17 row_newbcast:13 row_mask:0xf bank_mask:0xf// 00000000BDBC: 0A2222FA FF015D8C
	v_mul_f32_dpp v18, v140, v18 row_newbcast:14 row_mask:0xf bank_mask:0xf// 00000000BDC4: 0A2424FA FF015E8C
	v_mul_f32_dpp v19, v140, v19 row_newbcast:15 row_mask:0xf bank_mask:0xf// 00000000BDCC: 0A2626FA FF015F8C
	v_pk_mul_f32 v[20:21], v[134:135], v[20:21]                // 00000000BDD4: D3B14014 18022986
	v_pk_mul_f32 v[22:23], v[134:135], v[22:23]                // 00000000BDDC: D3B14016 18022D86
	v_mul_f32_dpp v20, v140, v20 row_newbcast:0 row_mask:0xf bank_mask:0xf// 00000000BDE4: 0A2828FA FF01508C
	v_mul_f32_dpp v21, v140, v21 row_newbcast:1 row_mask:0xf bank_mask:0xf// 00000000BDEC: 0A2A2AFA FF01518C
	v_mul_f32_dpp v22, v140, v22 row_newbcast:2 row_mask:0xf bank_mask:0xf// 00000000BDF4: 0A2C2CFA FF01528C
	v_mul_f32_dpp v23, v140, v23 row_newbcast:3 row_mask:0xf bank_mask:0xf// 00000000BDFC: 0A2E2EFA FF01538C
	v_pk_mul_f32 v[24:25], v[134:135], v[24:25]                // 00000000BE04: D3B14018 18023186
	v_pk_mul_f32 v[26:27], v[134:135], v[26:27]                // 00000000BE0C: D3B1401A 18023586
	v_mul_f32_dpp v24, v140, v24 row_newbcast:4 row_mask:0xf bank_mask:0xf// 00000000BE14: 0A3030FA FF01548C
	v_mul_f32_dpp v25, v140, v25 row_newbcast:5 row_mask:0xf bank_mask:0xf// 00000000BE1C: 0A3232FA FF01558C
	v_mul_f32_dpp v26, v140, v26 row_newbcast:6 row_mask:0xf bank_mask:0xf// 00000000BE24: 0A3434FA FF01568C
	v_mul_f32_dpp v27, v140, v27 row_newbcast:7 row_mask:0xf bank_mask:0xf// 00000000BE2C: 0A3636FA FF01578C
	v_pk_mul_f32 v[28:29], v[134:135], v[28:29]                // 00000000BE34: D3B1401C 18023986
	v_pk_mul_f32 v[30:31], v[134:135], v[30:31]                // 00000000BE3C: D3B1401E 18023D86
	v_mul_f32_dpp v28, v140, v28 row_newbcast:8 row_mask:0xf bank_mask:0xf// 00000000BE44: 0A3838FA FF01588C
	v_mul_f32_dpp v29, v140, v29 row_newbcast:9 row_mask:0xf bank_mask:0xf// 00000000BE4C: 0A3A3AFA FF01598C
	v_mul_f32_dpp v30, v140, v30 row_newbcast:10 row_mask:0xf bank_mask:0xf// 00000000BE54: 0A3C3CFA FF015A8C
	v_mul_f32_dpp v31, v140, v31 row_newbcast:11 row_mask:0xf bank_mask:0xf// 00000000BE5C: 0A3E3EFA FF015B8C
	v_pk_mul_f32 v[32:33], v[134:135], v[32:33]                // 00000000BE64: D3B14020 18024186
	v_pk_mul_f32 v[34:35], v[134:135], v[34:35]                // 00000000BE6C: D3B14022 18024586
	v_mul_f32_dpp v32, v140, v32 row_newbcast:12 row_mask:0xf bank_mask:0xf// 00000000BE74: 0A4040FA FF015C8C
	v_mul_f32_dpp v33, v140, v33 row_newbcast:13 row_mask:0xf bank_mask:0xf// 00000000BE7C: 0A4242FA FF015D8C
	v_mul_f32_dpp v34, v140, v34 row_newbcast:14 row_mask:0xf bank_mask:0xf// 00000000BE84: 0A4444FA FF015E8C
	v_mul_f32_dpp v35, v140, v35 row_newbcast:15 row_mask:0xf bank_mask:0xf// 00000000BE8C: 0A4646FA FF015F8C
	v_pk_mul_f32 v[36:37], v[136:137], v[36:37]                // 00000000BE94: D3B14024 18024988
	v_pk_mul_f32 v[38:39], v[136:137], v[38:39]                // 00000000BE9C: D3B14026 18024D88
	v_mul_f32_dpp v36, v140, v36 row_newbcast:0 row_mask:0xf bank_mask:0xf// 00000000BEA4: 0A4848FA FF01508C
	v_mul_f32_dpp v37, v140, v37 row_newbcast:1 row_mask:0xf bank_mask:0xf// 00000000BEAC: 0A4A4AFA FF01518C
	v_mul_f32_dpp v38, v140, v38 row_newbcast:2 row_mask:0xf bank_mask:0xf// 00000000BEB4: 0A4C4CFA FF01528C
	v_mul_f32_dpp v39, v140, v39 row_newbcast:3 row_mask:0xf bank_mask:0xf// 00000000BEBC: 0A4E4EFA FF01538C
	v_pk_mul_f32 v[40:41], v[136:137], v[40:41]                // 00000000BEC4: D3B14028 18025188
	v_pk_mul_f32 v[42:43], v[136:137], v[42:43]                // 00000000BECC: D3B1402A 18025588
	v_mul_f32_dpp v40, v140, v40 row_newbcast:4 row_mask:0xf bank_mask:0xf// 00000000BED4: 0A5050FA FF01548C
	v_mul_f32_dpp v41, v140, v41 row_newbcast:5 row_mask:0xf bank_mask:0xf// 00000000BEDC: 0A5252FA FF01558C
	v_mul_f32_dpp v42, v140, v42 row_newbcast:6 row_mask:0xf bank_mask:0xf// 00000000BEE4: 0A5454FA FF01568C
	v_mul_f32_dpp v43, v140, v43 row_newbcast:7 row_mask:0xf bank_mask:0xf// 00000000BEEC: 0A5656FA FF01578C
	v_pk_mul_f32 v[44:45], v[136:137], v[44:45]                // 00000000BEF4: D3B1402C 18025988
	v_pk_mul_f32 v[46:47], v[136:137], v[46:47]                // 00000000BEFC: D3B1402E 18025D88
	v_mul_f32_dpp v44, v140, v44 row_newbcast:8 row_mask:0xf bank_mask:0xf// 00000000BF04: 0A5858FA FF01588C
	v_mul_f32_dpp v45, v140, v45 row_newbcast:9 row_mask:0xf bank_mask:0xf// 00000000BF0C: 0A5A5AFA FF01598C
	v_mul_f32_dpp v46, v140, v46 row_newbcast:10 row_mask:0xf bank_mask:0xf// 00000000BF14: 0A5C5CFA FF015A8C
	v_mul_f32_dpp v47, v140, v47 row_newbcast:11 row_mask:0xf bank_mask:0xf// 00000000BF1C: 0A5E5EFA FF015B8C
	v_pk_mul_f32 v[48:49], v[136:137], v[48:49]                // 00000000BF24: D3B14030 18026188
	v_pk_mul_f32 v[50:51], v[136:137], v[50:51]                // 00000000BF2C: D3B14032 18026588
	v_mul_f32_dpp v48, v140, v48 row_newbcast:12 row_mask:0xf bank_mask:0xf// 00000000BF34: 0A6060FA FF015C8C
	v_mul_f32_dpp v49, v140, v49 row_newbcast:13 row_mask:0xf bank_mask:0xf// 00000000BF3C: 0A6262FA FF015D8C
	v_mul_f32_dpp v50, v140, v50 row_newbcast:14 row_mask:0xf bank_mask:0xf// 00000000BF44: 0A6464FA FF015E8C
	v_mul_f32_dpp v51, v140, v51 row_newbcast:15 row_mask:0xf bank_mask:0xf// 00000000BF4C: 0A6666FA FF015F8C
	v_pk_mul_f32 v[52:53], v[138:139], v[52:53]                // 00000000BF54: D3B14034 1802698A
	v_pk_mul_f32 v[54:55], v[138:139], v[54:55]                // 00000000BF5C: D3B14036 18026D8A
	v_mul_f32_dpp v52, v140, v52 row_newbcast:0 row_mask:0xf bank_mask:0xf// 00000000BF64: 0A6868FA FF01508C
	v_mul_f32_dpp v53, v140, v53 row_newbcast:1 row_mask:0xf bank_mask:0xf// 00000000BF6C: 0A6A6AFA FF01518C
	v_mul_f32_dpp v54, v140, v54 row_newbcast:2 row_mask:0xf bank_mask:0xf// 00000000BF74: 0A6C6CFA FF01528C
	v_mul_f32_dpp v55, v140, v55 row_newbcast:3 row_mask:0xf bank_mask:0xf// 00000000BF7C: 0A6E6EFA FF01538C
	v_pk_mul_f32 v[56:57], v[138:139], v[56:57]                // 00000000BF84: D3B14038 1802718A
	v_pk_mul_f32 v[58:59], v[138:139], v[58:59]                // 00000000BF8C: D3B1403A 1802758A
	v_mul_f32_dpp v56, v140, v56 row_newbcast:4 row_mask:0xf bank_mask:0xf// 00000000BF94: 0A7070FA FF01548C
	v_mul_f32_dpp v57, v140, v57 row_newbcast:5 row_mask:0xf bank_mask:0xf// 00000000BF9C: 0A7272FA FF01558C
	v_mul_f32_dpp v58, v140, v58 row_newbcast:6 row_mask:0xf bank_mask:0xf// 00000000BFA4: 0A7474FA FF01568C
	v_mul_f32_dpp v59, v140, v59 row_newbcast:7 row_mask:0xf bank_mask:0xf// 00000000BFAC: 0A7676FA FF01578C
	v_pk_mul_f32 v[60:61], v[138:139], v[60:61]                // 00000000BFB4: D3B1403C 1802798A
	v_pk_mul_f32 v[62:63], v[138:139], v[62:63]                // 00000000BFBC: D3B1403E 18027D8A
	v_mul_f32_dpp v60, v140, v60 row_newbcast:8 row_mask:0xf bank_mask:0xf// 00000000BFC4: 0A7878FA FF01588C
	v_mul_f32_dpp v61, v140, v61 row_newbcast:9 row_mask:0xf bank_mask:0xf// 00000000BFCC: 0A7A7AFA FF01598C
	v_mul_f32_dpp v62, v140, v62 row_newbcast:10 row_mask:0xf bank_mask:0xf// 00000000BFD4: 0A7C7CFA FF015A8C
	v_mul_f32_dpp v63, v140, v63 row_newbcast:11 row_mask:0xf bank_mask:0xf// 00000000BFDC: 0A7E7EFA FF015B8C
	v_pk_mul_f32 v[64:65], v[138:139], v[64:65]                // 00000000BFE4: D3B14040 1802818A
	v_pk_mul_f32 v[66:67], v[138:139], v[66:67]                // 00000000BFEC: D3B14042 1802858A
	v_mul_f32_dpp v64, v140, v64 row_newbcast:12 row_mask:0xf bank_mask:0xf// 00000000BFF4: 0A8080FA FF015C8C
	v_mul_f32_dpp v65, v140, v65 row_newbcast:13 row_mask:0xf bank_mask:0xf// 00000000BFFC: 0A8282FA FF015D8C
	v_mul_f32_dpp v66, v140, v66 row_newbcast:14 row_mask:0xf bank_mask:0xf// 00000000C004: 0A8484FA FF015E8C
	v_mul_f32_dpp v67, v140, v67 row_newbcast:15 row_mask:0xf bank_mask:0xf// 00000000C00C: 0A8686FA FF015F8C
	v_mov_b32_e32 v176, v4                                     // 00000000C014: 7F600304
	v_max3_f32 v176, v4, v5, v176                              // 00000000C018: D1D300B0 06C20B04
	v_max3_f32 v176, v6, v7, v176                              // 00000000C020: D1D300B0 06C20F06
	v_max3_f32 v176, v8, v9, v176                              // 00000000C028: D1D300B0 06C21308
	v_max3_f32 v176, v10, v11, v176                            // 00000000C030: D1D300B0 06C2170A
	v_max3_f32 v176, v12, v13, v176                            // 00000000C038: D1D300B0 06C21B0C
	v_max3_f32 v176, v14, v15, v176                            // 00000000C040: D1D300B0 06C21F0E
	v_max3_f32 v176, v16, v17, v176                            // 00000000C048: D1D300B0 06C22310
	v_max3_f32 v176, v18, v19, v176                            // 00000000C050: D1D300B0 06C22712
	v_mov_b32_e32 v177, v20                                    // 00000000C058: 7F620314
	v_max3_f32 v177, v20, v21, v177                            // 00000000C05C: D1D300B1 06C62B14
	v_max3_f32 v177, v22, v23, v177                            // 00000000C064: D1D300B1 06C62F16
	v_max3_f32 v177, v24, v25, v177                            // 00000000C06C: D1D300B1 06C63318
	v_max3_f32 v177, v26, v27, v177                            // 00000000C074: D1D300B1 06C6371A
	v_max3_f32 v177, v28, v29, v177                            // 00000000C07C: D1D300B1 06C63B1C
	v_max3_f32 v177, v30, v31, v177                            // 00000000C084: D1D300B1 06C63F1E
	v_max3_f32 v177, v32, v33, v177                            // 00000000C08C: D1D300B1 06C64320
	v_max3_f32 v177, v34, v35, v177                            // 00000000C094: D1D300B1 06C64722
	v_mov_b32_e32 v178, v36                                    // 00000000C09C: 7F640324
	v_max3_f32 v178, v36, v37, v178                            // 00000000C0A0: D1D300B2 06CA4B24
	v_max3_f32 v178, v38, v39, v178                            // 00000000C0A8: D1D300B2 06CA4F26
	v_max3_f32 v178, v40, v41, v178                            // 00000000C0B0: D1D300B2 06CA5328
	v_max3_f32 v178, v42, v43, v178                            // 00000000C0B8: D1D300B2 06CA572A
	v_max3_f32 v178, v44, v45, v178                            // 00000000C0C0: D1D300B2 06CA5B2C
	v_max3_f32 v178, v46, v47, v178                            // 00000000C0C8: D1D300B2 06CA5F2E
	v_max3_f32 v178, v48, v49, v178                            // 00000000C0D0: D1D300B2 06CA6330
	v_max3_f32 v178, v50, v51, v178                            // 00000000C0D8: D1D300B2 06CA6732
	v_mov_b32_e32 v179, v52                                    // 00000000C0E0: 7F660334
	v_max3_f32 v179, v52, v53, v179                            // 00000000C0E4: D1D300B3 06CE6B34
	v_max3_f32 v179, v54, v55, v179                            // 00000000C0EC: D1D300B3 06CE6F36
	v_max3_f32 v179, v56, v57, v179                            // 00000000C0F4: D1D300B3 06CE7338
	v_max3_f32 v179, v58, v59, v179                            // 00000000C0FC: D1D300B3 06CE773A
	v_max3_f32 v179, v60, v61, v179                            // 00000000C104: D1D300B3 06CE7B3C
	v_max3_f32 v179, v62, v63, v179                            // 00000000C10C: D1D300B3 06CE7F3E
	v_max3_f32 v179, v64, v65, v179                            // 00000000C114: D1D300B3 06CE8340
	v_max3_f32 v179, v66, v67, v179                            // 00000000C11C: D1D300B3 06CE8742
	v_pk_mul_f32 v[100:101], v[160:161], v[100:101]            // 00000000C124: D3B14064 1802C9A0
	v_pk_mul_f32 v[102:103], v[160:161], v[102:103]            // 00000000C12C: D3B14066 1802CDA0
	v_pk_mul_f32 v[104:105], v[160:161], v[104:105]            // 00000000C134: D3B14068 1802D1A0
	v_pk_mul_f32 v[106:107], v[160:161], v[106:107]            // 00000000C13C: D3B1406A 1802D5A0
	v_pk_mul_f32 v[108:109], v[162:163], v[108:109]            // 00000000C144: D3B1406C 1802D9A2
	v_pk_mul_f32 v[110:111], v[162:163], v[110:111]            // 00000000C14C: D3B1406E 1802DDA2
	v_pk_mul_f32 v[112:113], v[162:163], v[112:113]            // 00000000C154: D3B14070 1802E1A2
	v_pk_mul_f32 v[114:115], v[162:163], v[114:115]            // 00000000C15C: D3B14072 1802E5A2
	v_pk_mul_f32 v[116:117], v[164:165], v[116:117]            // 00000000C164: D3B14074 1802E9A4
	v_pk_mul_f32 v[118:119], v[164:165], v[118:119]            // 00000000C16C: D3B14076 1802EDA4
	v_pk_mul_f32 v[120:121], v[164:165], v[120:121]            // 00000000C174: D3B14078 1802F1A4
	v_pk_mul_f32 v[122:123], v[164:165], v[122:123]            // 00000000C17C: D3B1407A 1802F5A4
	v_pk_mul_f32 v[124:125], v[166:167], v[124:125]            // 00000000C184: D3B1407C 1802F9A6
	v_pk_mul_f32 v[126:127], v[166:167], v[126:127]            // 00000000C18C: D3B1407E 1802FDA6
	v_pk_mul_f32 v[128:129], v[166:167], v[128:129]            // 00000000C194: D3B14080 180301A6
	v_pk_mul_f32 v[130:131], v[166:167], v[130:131]            // 00000000C19C: D3B14082 180305A6
	ds_bpermute_b32 v180, v200, v176                           // 00000000C1A4: D87E0000 B400B0C8
	ds_bpermute_b32 v181, v201, v176                           // 00000000C1AC: D87E0000 B500B0C9
	ds_bpermute_b32 v182, v202, v176                           // 00000000C1B4: D87E0000 B600B0CA
	ds_bpermute_b32 v183, v200, v177                           // 00000000C1BC: D87E0000 B700B1C8
	ds_bpermute_b32 v184, v201, v177                           // 00000000C1C4: D87E0000 B800B1C9
	ds_bpermute_b32 v185, v202, v177                           // 00000000C1CC: D87E0000 B900B1CA
	ds_bpermute_b32 v186, v200, v178                           // 00000000C1D4: D87E0000 BA00B2C8
	ds_bpermute_b32 v187, v201, v178                           // 00000000C1DC: D87E0000 BB00B2C9
	ds_bpermute_b32 v188, v202, v178                           // 00000000C1E4: D87E0000 BC00B2CA
	ds_bpermute_b32 v189, v200, v179                           // 00000000C1EC: D87E0000 BD00B3C8
	ds_bpermute_b32 v190, v201, v179                           // 00000000C1F4: D87E0000 BE00B3C9
	ds_bpermute_b32 v191, v202, v179                           // 00000000C1FC: D87E0000 BF00B3CA
	s_waitcnt lgkmcnt(9)                                       // 00000000C204: BF8CC97F
	v_max3_f32 v176, v180, v181, v176                          // 00000000C208: D1D300B0 06C36BB4
	v_max_f32_e32 v176, v182, v176                             // 00000000C210: 176161B6
	s_waitcnt lgkmcnt(6)                                       // 00000000C214: BF8CC67F
	v_max3_f32 v177, v183, v184, v177                          // 00000000C218: D1D300B1 06C771B7
	v_max_f32_e32 v177, v185, v177                             // 00000000C220: 176363B9
	s_waitcnt lgkmcnt(3)                                       // 00000000C224: BF8CC37F
	v_max3_f32 v178, v186, v187, v178                          // 00000000C228: D1D300B2 06CB77BA
	v_max_f32_e32 v178, v188, v178                             // 00000000C230: 176565BC
	s_waitcnt lgkmcnt(0)                                       // 00000000C234: BF8CC07F
	v_max3_f32 v179, v189, v190, v179                          // 00000000C238: D1D300B3 06CF7DBD
	v_max_f32_e32 v179, v191, v179                             // 00000000C240: 176767BF
	ds_write_b128 v247, v[176:179]                             // 00000000C244: D9BE0000 0000B0F7
	s_waitcnt lgkmcnt(0)                                       // 00000000C24C: BF8CC07F
	s_barrier                                                  // 00000000C250: BF8A0000
	v_pk_mul_f32 v[68:69], v[144:145], v[68:69]                // 00000000C254: D3B14044 18028990
	v_pk_mul_f32 v[70:71], v[144:145], v[70:71]                // 00000000C25C: D3B14046 18028D90
	v_pk_mul_f32 v[72:73], v[144:145], v[72:73]                // 00000000C264: D3B14048 18029190
	v_pk_mul_f32 v[74:75], v[144:145], v[74:75]                // 00000000C26C: D3B1404A 18029590
	v_pk_mul_f32 v[76:77], v[146:147], v[76:77]                // 00000000C274: D3B1404C 18029992
	v_pk_mul_f32 v[78:79], v[146:147], v[78:79]                // 00000000C27C: D3B1404E 18029D92
	v_pk_mul_f32 v[80:81], v[146:147], v[80:81]                // 00000000C284: D3B14050 1802A192
	v_pk_mul_f32 v[82:83], v[146:147], v[82:83]                // 00000000C28C: D3B14052 1802A592
	v_pk_mul_f32 v[84:85], v[148:149], v[84:85]                // 00000000C294: D3B14054 1802A994
	v_pk_mul_f32 v[86:87], v[148:149], v[86:87]                // 00000000C29C: D3B14056 1802AD94
	v_pk_mul_f32 v[88:89], v[148:149], v[88:89]                // 00000000C2A4: D3B14058 1802B194
	v_pk_mul_f32 v[90:91], v[148:149], v[90:91]                // 00000000C2AC: D3B1405A 1802B594
	v_pk_mul_f32 v[92:93], v[150:151], v[92:93]                // 00000000C2B4: D3B1405C 1802B996
	v_pk_mul_f32 v[94:95], v[150:151], v[94:95]                // 00000000C2BC: D3B1405E 1802BD96
	v_pk_mul_f32 v[96:97], v[150:151], v[96:97]                // 00000000C2C4: D3B14060 1802C196
	v_pk_mul_f32 v[98:99], v[150:151], v[98:99]                // 00000000C2CC: D3B14062 1802C596
	ds_read_b128 v[180:183], v248                              // 00000000C2D4: D9FE0000 B40000F8
	ds_read_b128 v[184:187], v248 offset:256                   // 00000000C2DC: D9FE0100 B80000F8
	ds_read_b128 v[188:191], v248 offset:512                   // 00000000C2E4: D9FE0200 BC0000F8
	ds_read_b128 v[192:195], v248 offset:768                   // 00000000C2EC: D9FE0300 C00000F8
	s_waitcnt lgkmcnt(0)                                       // 00000000C2F4: BF8CC07F
	v_max3_f32 v176, v180, v184, v176                          // 00000000C2F8: D1D300B0 06C371B4
	v_max3_f32 v177, v181, v185, v177                          // 00000000C300: D1D300B1 06C773B5
	v_max3_f32 v178, v182, v186, v178                          // 00000000C308: D1D300B2 06CB75B6
	v_max3_f32 v179, v183, v187, v179                          // 00000000C310: D1D300B3 06CF77B7
	v_max3_f32 v176, v188, v192, v176                          // 00000000C318: D1D300B0 06C381BC
	v_max3_f32 v177, v189, v193, v177                          // 00000000C320: D1D300B1 06C783BD
	v_max3_f32 v178, v190, v194, v178                          // 00000000C328: D1D300B2 06CB85BE
	v_max3_f32 v179, v191, v195, v179                          // 00000000C330: D1D300B3 06CF87BF
	v_max_f32_e32 v156, v176, v152                             // 00000000C338: 173931B0
	v_mul_f32_e64 v196, -s46, v156                             // 00000000C33C: D10500C4 2003382E
	v_mov_b32_e32 v197, v196                                   // 00000000C344: 7F8A03C4
	v_pk_fma_f32 v[4:5], v[4:5], s[46:47], v[196:197]          // 00000000C348: D3B04004 1F105D04
	v_pk_fma_f32 v[6:7], v[6:7], s[46:47], v[196:197]          // 00000000C350: D3B04006 1F105D06
	v_exp_f32_e32 v4, v4                                       // 00000000C358: 7E084104
	v_exp_f32_e32 v5, v5                                       // 00000000C35C: 7E0A4105
	v_exp_f32_e32 v6, v6                                       // 00000000C360: 7E0C4106
	v_exp_f32_e32 v7, v7                                       // 00000000C364: 7E0E4107
	v_pk_fma_f32 v[8:9], v[8:9], s[46:47], v[196:197]          // 00000000C368: D3B04008 1F105D08
	v_pk_fma_f32 v[10:11], v[10:11], s[46:47], v[196:197]      // 00000000C370: D3B0400A 1F105D0A
	v_exp_f32_e32 v8, v8                                       // 00000000C378: 7E104108
	v_exp_f32_e32 v9, v9                                       // 00000000C37C: 7E124109
	v_exp_f32_e32 v10, v10                                     // 00000000C380: 7E14410A
	v_exp_f32_e32 v11, v11                                     // 00000000C384: 7E16410B
	v_pk_fma_f32 v[12:13], v[12:13], s[46:47], v[196:197]      // 00000000C388: D3B0400C 1F105D0C
	v_pk_fma_f32 v[14:15], v[14:15], s[46:47], v[196:197]      // 00000000C390: D3B0400E 1F105D0E
	v_exp_f32_e32 v12, v12                                     // 00000000C398: 7E18410C
	v_exp_f32_e32 v13, v13                                     // 00000000C39C: 7E1A410D
	v_exp_f32_e32 v14, v14                                     // 00000000C3A0: 7E1C410E
	v_exp_f32_e32 v15, v15                                     // 00000000C3A4: 7E1E410F
	v_pk_fma_f32 v[16:17], v[16:17], s[46:47], v[196:197]      // 00000000C3A8: D3B04010 1F105D10
	v_pk_fma_f32 v[18:19], v[18:19], s[46:47], v[196:197]      // 00000000C3B0: D3B04012 1F105D12
	v_exp_f32_e32 v16, v16                                     // 00000000C3B8: 7E204110
	v_exp_f32_e32 v17, v17                                     // 00000000C3BC: 7E224111
	v_exp_f32_e32 v18, v18                                     // 00000000C3C0: 7E244112
	v_exp_f32_e32 v19, v19                                     // 00000000C3C4: 7E264113
	v_max_f32_e32 v157, v177, v153                             // 00000000C3C8: 173B33B1
	v_mul_f32_e64 v196, -s46, v157                             // 00000000C3CC: D10500C4 20033A2E
	v_mov_b32_e32 v197, v196                                   // 00000000C3D4: 7F8A03C4
	v_pk_fma_f32 v[20:21], v[20:21], s[46:47], v[196:197]      // 00000000C3D8: D3B04014 1F105D14
	v_pk_fma_f32 v[22:23], v[22:23], s[46:47], v[196:197]      // 00000000C3E0: D3B04016 1F105D16
	v_exp_f32_e32 v20, v20                                     // 00000000C3E8: 7E284114
	v_exp_f32_e32 v21, v21                                     // 00000000C3EC: 7E2A4115
	v_exp_f32_e32 v22, v22                                     // 00000000C3F0: 7E2C4116
	v_exp_f32_e32 v23, v23                                     // 00000000C3F4: 7E2E4117
	v_pk_fma_f32 v[24:25], v[24:25], s[46:47], v[196:197]      // 00000000C3F8: D3B04018 1F105D18
	v_pk_fma_f32 v[26:27], v[26:27], s[46:47], v[196:197]      // 00000000C400: D3B0401A 1F105D1A
	v_exp_f32_e32 v24, v24                                     // 00000000C408: 7E304118
	v_exp_f32_e32 v25, v25                                     // 00000000C40C: 7E324119
	v_exp_f32_e32 v26, v26                                     // 00000000C410: 7E34411A
	v_exp_f32_e32 v27, v27                                     // 00000000C414: 7E36411B
	v_pk_fma_f32 v[28:29], v[28:29], s[46:47], v[196:197]      // 00000000C418: D3B0401C 1F105D1C
	v_pk_fma_f32 v[30:31], v[30:31], s[46:47], v[196:197]      // 00000000C420: D3B0401E 1F105D1E
	v_exp_f32_e32 v28, v28                                     // 00000000C428: 7E38411C
	v_exp_f32_e32 v29, v29                                     // 00000000C42C: 7E3A411D
	v_exp_f32_e32 v30, v30                                     // 00000000C430: 7E3C411E
	v_exp_f32_e32 v31, v31                                     // 00000000C434: 7E3E411F
	v_pk_fma_f32 v[32:33], v[32:33], s[46:47], v[196:197]      // 00000000C438: D3B04020 1F105D20
	v_pk_fma_f32 v[34:35], v[34:35], s[46:47], v[196:197]      // 00000000C440: D3B04022 1F105D22
	v_exp_f32_e32 v32, v32                                     // 00000000C448: 7E404120
	v_exp_f32_e32 v33, v33                                     // 00000000C44C: 7E424121
	v_exp_f32_e32 v34, v34                                     // 00000000C450: 7E444122
	v_exp_f32_e32 v35, v35                                     // 00000000C454: 7E464123
	v_max_f32_e32 v158, v178, v154                             // 00000000C458: 173D35B2
	v_mul_f32_e64 v196, -s46, v158                             // 00000000C45C: D10500C4 20033C2E
	v_mov_b32_e32 v197, v196                                   // 00000000C464: 7F8A03C4
	v_pk_fma_f32 v[36:37], v[36:37], s[46:47], v[196:197]      // 00000000C468: D3B04024 1F105D24
	v_pk_fma_f32 v[38:39], v[38:39], s[46:47], v[196:197]      // 00000000C470: D3B04026 1F105D26
	v_exp_f32_e32 v36, v36                                     // 00000000C478: 7E484124
	v_exp_f32_e32 v37, v37                                     // 00000000C47C: 7E4A4125
	v_exp_f32_e32 v38, v38                                     // 00000000C480: 7E4C4126
	v_exp_f32_e32 v39, v39                                     // 00000000C484: 7E4E4127
	v_pk_fma_f32 v[40:41], v[40:41], s[46:47], v[196:197]      // 00000000C488: D3B04028 1F105D28
	v_pk_fma_f32 v[42:43], v[42:43], s[46:47], v[196:197]      // 00000000C490: D3B0402A 1F105D2A
	v_exp_f32_e32 v40, v40                                     // 00000000C498: 7E504128
	v_exp_f32_e32 v41, v41                                     // 00000000C49C: 7E524129
	v_exp_f32_e32 v42, v42                                     // 00000000C4A0: 7E54412A
	v_exp_f32_e32 v43, v43                                     // 00000000C4A4: 7E56412B
	v_pk_fma_f32 v[44:45], v[44:45], s[46:47], v[196:197]      // 00000000C4A8: D3B0402C 1F105D2C
	v_pk_fma_f32 v[46:47], v[46:47], s[46:47], v[196:197]      // 00000000C4B0: D3B0402E 1F105D2E
	v_exp_f32_e32 v44, v44                                     // 00000000C4B8: 7E58412C
	v_exp_f32_e32 v45, v45                                     // 00000000C4BC: 7E5A412D
	v_exp_f32_e32 v46, v46                                     // 00000000C4C0: 7E5C412E
	v_exp_f32_e32 v47, v47                                     // 00000000C4C4: 7E5E412F
	v_pk_fma_f32 v[48:49], v[48:49], s[46:47], v[196:197]      // 00000000C4C8: D3B04030 1F105D30
	v_pk_fma_f32 v[50:51], v[50:51], s[46:47], v[196:197]      // 00000000C4D0: D3B04032 1F105D32
	v_exp_f32_e32 v48, v48                                     // 00000000C4D8: 7E604130
	v_exp_f32_e32 v49, v49                                     // 00000000C4DC: 7E624131
	v_exp_f32_e32 v50, v50                                     // 00000000C4E0: 7E644132
	v_exp_f32_e32 v51, v51                                     // 00000000C4E4: 7E664133
	v_max_f32_e32 v159, v179, v155                             // 00000000C4E8: 173F37B3
	v_mul_f32_e64 v196, -s46, v159                             // 00000000C4EC: D10500C4 20033E2E
	v_mov_b32_e32 v197, v196                                   // 00000000C4F4: 7F8A03C4
	v_pk_fma_f32 v[52:53], v[52:53], s[46:47], v[196:197]      // 00000000C4F8: D3B04034 1F105D34
	v_pk_fma_f32 v[54:55], v[54:55], s[46:47], v[196:197]      // 00000000C500: D3B04036 1F105D36
	v_exp_f32_e32 v52, v52                                     // 00000000C508: 7E684134
	v_exp_f32_e32 v53, v53                                     // 00000000C50C: 7E6A4135
	v_exp_f32_e32 v54, v54                                     // 00000000C510: 7E6C4136
	v_exp_f32_e32 v55, v55                                     // 00000000C514: 7E6E4137
	v_pk_fma_f32 v[56:57], v[56:57], s[46:47], v[196:197]      // 00000000C518: D3B04038 1F105D38
	v_pk_fma_f32 v[58:59], v[58:59], s[46:47], v[196:197]      // 00000000C520: D3B0403A 1F105D3A
	v_exp_f32_e32 v56, v56                                     // 00000000C528: 7E704138
	v_exp_f32_e32 v57, v57                                     // 00000000C52C: 7E724139
	v_exp_f32_e32 v58, v58                                     // 00000000C530: 7E74413A
	v_exp_f32_e32 v59, v59                                     // 00000000C534: 7E76413B
	v_pk_fma_f32 v[60:61], v[60:61], s[46:47], v[196:197]      // 00000000C538: D3B0403C 1F105D3C
	v_pk_fma_f32 v[62:63], v[62:63], s[46:47], v[196:197]      // 00000000C540: D3B0403E 1F105D3E
	v_exp_f32_e32 v60, v60                                     // 00000000C548: 7E78413C
	v_exp_f32_e32 v61, v61                                     // 00000000C54C: 7E7A413D
	v_exp_f32_e32 v62, v62                                     // 00000000C550: 7E7C413E
	v_exp_f32_e32 v63, v63                                     // 00000000C554: 7E7E413F
	v_pk_fma_f32 v[64:65], v[64:65], s[46:47], v[196:197]      // 00000000C558: D3B04040 1F105D40
	v_pk_fma_f32 v[66:67], v[66:67], s[46:47], v[196:197]      // 00000000C560: D3B04042 1F105D42
	v_exp_f32_e32 v64, v64                                     // 00000000C568: 7E804140
	v_exp_f32_e32 v65, v65                                     // 00000000C56C: 7E824141
	v_exp_f32_e32 v66, v66                                     // 00000000C570: 7E844142
	v_exp_f32_e32 v67, v67                                     // 00000000C574: 7E864143
	v_sub_f32_e32 v160, v152, v156                             // 00000000C578: 05413998
	v_cmp_eq_u32_e64 s[98:99], v216, v152                      // 00000000C57C: D0CA0062 000331D8
	v_cndmask_b32_e64 v160, v160, 0, s[98:99]                  // 00000000C584: D10000A0 018901A0
	v_mov_b32_e32 v152, v156                                   // 00000000C58C: 7F30039C
	v_mul_f32_e32 v160, s46, v160                              // 00000000C590: 0B41402E
	v_exp_f32_e32 v160, v160                                   // 00000000C594: 7F4041A0
	v_sub_f32_e32 v162, v153, v157                             // 00000000C598: 05453B99
	v_cmp_eq_u32_e64 s[98:99], v216, v153                      // 00000000C59C: D0CA0062 000333D8
	v_cndmask_b32_e64 v162, v162, 0, s[98:99]                  // 00000000C5A4: D10000A2 018901A2
	v_mov_b32_e32 v153, v157                                   // 00000000C5AC: 7F32039D
	v_mul_f32_e32 v162, s46, v162                              // 00000000C5B0: 0B45442E
	v_exp_f32_e32 v162, v162                                   // 00000000C5B4: 7F4441A2
	v_sub_f32_e32 v164, v154, v158                             // 00000000C5B8: 05493D9A
	v_cmp_eq_u32_e64 s[98:99], v216, v154                      // 00000000C5BC: D0CA0062 000335D8
	v_cndmask_b32_e64 v164, v164, 0, s[98:99]                  // 00000000C5C4: D10000A4 018901A4
	v_mov_b32_e32 v154, v158                                   // 00000000C5CC: 7F34039E
	v_mul_f32_e32 v164, s46, v164                              // 00000000C5D0: 0B49482E
	v_exp_f32_e32 v164, v164                                   // 00000000C5D4: 7F4841A4
	v_sub_f32_e32 v166, v155, v159                             // 00000000C5D8: 054D3F9B
	v_cmp_eq_u32_e64 s[98:99], v216, v155                      // 00000000C5DC: D0CA0062 000337D8
	v_cndmask_b32_e64 v166, v166, 0, s[98:99]                  // 00000000C5E4: D10000A6 018901A6
	v_mov_b32_e32 v155, v159                                   // 00000000C5EC: 7F36039F
	v_mul_f32_e32 v166, s46, v166                              // 00000000C5F0: 0B4D4C2E
	v_exp_f32_e32 v166, v166                                   // 00000000C5F4: 7F4C41A6
	v_mov_b32_e32 v161, v160                                   // 00000000C5F8: 7F4203A0
	v_mov_b32_e32 v163, v162                                   // 00000000C5FC: 7F4603A2
	v_mov_b32_e32 v165, v164                                   // 00000000C600: 7F4A03A4
	v_mov_b32_e32 v167, v166                                   // 00000000C604: 7F4E03A6
	v_mul_f32_e32 v168, v160, v168                             // 00000000C608: 0B5151A0
	v_mov_b32_e32 v169, 0                                      // 00000000C60C: 7F520280
	v_pk_add_f32 v[168:169], v[4:5], v[168:169]                // 00000000C610: D3B240A8 18035104
	v_pk_add_f32 v[168:169], v[6:7], v[168:169]                // 00000000C618: D3B240A8 18035106
	v_pk_add_f32 v[168:169], v[8:9], v[168:169]                // 00000000C620: D3B240A8 18035108
	v_pk_add_f32 v[168:169], v[10:11], v[168:169]              // 00000000C628: D3B240A8 1803510A
	v_pk_add_f32 v[168:169], v[12:13], v[168:169]              // 00000000C630: D3B240A8 1803510C
	v_pk_add_f32 v[168:169], v[14:15], v[168:169]              // 00000000C638: D3B240A8 1803510E
	v_pk_add_f32 v[168:169], v[16:17], v[168:169]              // 00000000C640: D3B240A8 18035110
	v_pk_add_f32 v[168:169], v[18:19], v[168:169]              // 00000000C648: D3B240A8 18035112
	v_add_f32_e32 v168, v169, v168                             // 00000000C650: 035151A9
	v_mul_f32_e32 v170, v162, v170                             // 00000000C654: 0B5555A2
	v_mov_b32_e32 v171, 0                                      // 00000000C658: 7F560280
	v_pk_add_f32 v[170:171], v[20:21], v[170:171]              // 00000000C65C: D3B240AA 18035514
	v_pk_add_f32 v[170:171], v[22:23], v[170:171]              // 00000000C664: D3B240AA 18035516
	v_pk_add_f32 v[170:171], v[24:25], v[170:171]              // 00000000C66C: D3B240AA 18035518
	v_pk_add_f32 v[170:171], v[26:27], v[170:171]              // 00000000C674: D3B240AA 1803551A
	v_pk_add_f32 v[170:171], v[28:29], v[170:171]              // 00000000C67C: D3B240AA 1803551C
	v_pk_add_f32 v[170:171], v[30:31], v[170:171]              // 00000000C684: D3B240AA 1803551E
	v_pk_add_f32 v[170:171], v[32:33], v[170:171]              // 00000000C68C: D3B240AA 18035520
	v_pk_add_f32 v[170:171], v[34:35], v[170:171]              // 00000000C694: D3B240AA 18035522
	v_add_f32_e32 v170, v171, v170                             // 00000000C69C: 035555AB
	v_mul_f32_e32 v172, v164, v172                             // 00000000C6A0: 0B5959A4
	v_mov_b32_e32 v173, 0                                      // 00000000C6A4: 7F5A0280
	v_pk_add_f32 v[172:173], v[36:37], v[172:173]              // 00000000C6A8: D3B240AC 18035924
	v_pk_add_f32 v[172:173], v[38:39], v[172:173]              // 00000000C6B0: D3B240AC 18035926
	v_pk_add_f32 v[172:173], v[40:41], v[172:173]              // 00000000C6B8: D3B240AC 18035928
	v_pk_add_f32 v[172:173], v[42:43], v[172:173]              // 00000000C6C0: D3B240AC 1803592A
	v_pk_add_f32 v[172:173], v[44:45], v[172:173]              // 00000000C6C8: D3B240AC 1803592C
	v_pk_add_f32 v[172:173], v[46:47], v[172:173]              // 00000000C6D0: D3B240AC 1803592E
	v_pk_add_f32 v[172:173], v[48:49], v[172:173]              // 00000000C6D8: D3B240AC 18035930
	v_pk_add_f32 v[172:173], v[50:51], v[172:173]              // 00000000C6E0: D3B240AC 18035932
	v_add_f32_e32 v172, v173, v172                             // 00000000C6E8: 035959AD
	v_mul_f32_e32 v174, v166, v174                             // 00000000C6EC: 0B5D5DA6
	v_mov_b32_e32 v175, 0                                      // 00000000C6F0: 7F5E0280
	v_pk_add_f32 v[174:175], v[52:53], v[174:175]              // 00000000C6F4: D3B240AE 18035D34
	v_pk_add_f32 v[174:175], v[54:55], v[174:175]              // 00000000C6FC: D3B240AE 18035D36
	v_pk_add_f32 v[174:175], v[56:57], v[174:175]              // 00000000C704: D3B240AE 18035D38
	v_pk_add_f32 v[174:175], v[58:59], v[174:175]              // 00000000C70C: D3B240AE 18035D3A
	v_pk_add_f32 v[174:175], v[60:61], v[174:175]              // 00000000C714: D3B240AE 18035D3C
	v_pk_add_f32 v[174:175], v[62:63], v[174:175]              // 00000000C71C: D3B240AE 18035D3E
	v_pk_add_f32 v[174:175], v[64:65], v[174:175]              // 00000000C724: D3B240AE 18035D40
	v_pk_add_f32 v[174:175], v[66:67], v[174:175]              // 00000000C72C: D3B240AE 18035D42
	v_add_f32_e32 v174, v175, v174                             // 00000000C734: 035D5DAF
	v_mul_f32_dpp v4, v142, v4 row_newbcast:0 row_mask:0xf bank_mask:0xf// 00000000C738: 0A0808FA FF01508E
	v_mul_f32_dpp v5, v142, v5 row_newbcast:1 row_mask:0xf bank_mask:0xf// 00000000C740: 0A0A0AFA FF01518E
	v_mul_f32_dpp v6, v142, v6 row_newbcast:2 row_mask:0xf bank_mask:0xf// 00000000C748: 0A0C0CFA FF01528E
	v_mul_f32_dpp v7, v142, v7 row_newbcast:3 row_mask:0xf bank_mask:0xf// 00000000C750: 0A0E0EFA FF01538E
	v_mul_f32_dpp v8, v142, v8 row_newbcast:4 row_mask:0xf bank_mask:0xf// 00000000C758: 0A1010FA FF01548E
	v_mul_f32_dpp v9, v142, v9 row_newbcast:5 row_mask:0xf bank_mask:0xf// 00000000C760: 0A1212FA FF01558E
	v_mul_f32_dpp v10, v142, v10 row_newbcast:6 row_mask:0xf bank_mask:0xf// 00000000C768: 0A1414FA FF01568E
	v_mul_f32_dpp v11, v142, v11 row_newbcast:7 row_mask:0xf bank_mask:0xf// 00000000C770: 0A1616FA FF01578E
	v_mul_f32_dpp v12, v142, v12 row_newbcast:8 row_mask:0xf bank_mask:0xf// 00000000C778: 0A1818FA FF01588E
	v_mul_f32_dpp v13, v142, v13 row_newbcast:9 row_mask:0xf bank_mask:0xf// 00000000C780: 0A1A1AFA FF01598E
	v_mul_f32_dpp v14, v142, v14 row_newbcast:10 row_mask:0xf bank_mask:0xf// 00000000C788: 0A1C1CFA FF015A8E
	v_mul_f32_dpp v15, v142, v15 row_newbcast:11 row_mask:0xf bank_mask:0xf// 00000000C790: 0A1E1EFA FF015B8E
	v_mul_f32_dpp v16, v142, v16 row_newbcast:12 row_mask:0xf bank_mask:0xf// 00000000C798: 0A2020FA FF015C8E
	v_mul_f32_dpp v17, v142, v17 row_newbcast:13 row_mask:0xf bank_mask:0xf// 00000000C7A0: 0A2222FA FF015D8E
	v_mul_f32_dpp v18, v142, v18 row_newbcast:14 row_mask:0xf bank_mask:0xf// 00000000C7A8: 0A2424FA FF015E8E
	v_mul_f32_dpp v19, v142, v19 row_newbcast:15 row_mask:0xf bank_mask:0xf// 00000000C7B0: 0A2626FA FF015F8E
	v_mul_f32_dpp v20, v142, v20 row_newbcast:0 row_mask:0xf bank_mask:0xf// 00000000C7B8: 0A2828FA FF01508E
	v_mul_f32_dpp v21, v142, v21 row_newbcast:1 row_mask:0xf bank_mask:0xf// 00000000C7C0: 0A2A2AFA FF01518E
	v_mul_f32_dpp v22, v142, v22 row_newbcast:2 row_mask:0xf bank_mask:0xf// 00000000C7C8: 0A2C2CFA FF01528E
	v_mul_f32_dpp v23, v142, v23 row_newbcast:3 row_mask:0xf bank_mask:0xf// 00000000C7D0: 0A2E2EFA FF01538E
	v_mul_f32_dpp v24, v142, v24 row_newbcast:4 row_mask:0xf bank_mask:0xf// 00000000C7D8: 0A3030FA FF01548E
	v_mul_f32_dpp v25, v142, v25 row_newbcast:5 row_mask:0xf bank_mask:0xf// 00000000C7E0: 0A3232FA FF01558E
	v_mul_f32_dpp v26, v142, v26 row_newbcast:6 row_mask:0xf bank_mask:0xf// 00000000C7E8: 0A3434FA FF01568E
	v_mul_f32_dpp v27, v142, v27 row_newbcast:7 row_mask:0xf bank_mask:0xf// 00000000C7F0: 0A3636FA FF01578E
	v_mul_f32_dpp v28, v142, v28 row_newbcast:8 row_mask:0xf bank_mask:0xf// 00000000C7F8: 0A3838FA FF01588E
	v_mul_f32_dpp v29, v142, v29 row_newbcast:9 row_mask:0xf bank_mask:0xf// 00000000C800: 0A3A3AFA FF01598E
	v_mul_f32_dpp v30, v142, v30 row_newbcast:10 row_mask:0xf bank_mask:0xf// 00000000C808: 0A3C3CFA FF015A8E
	v_mul_f32_dpp v31, v142, v31 row_newbcast:11 row_mask:0xf bank_mask:0xf// 00000000C810: 0A3E3EFA FF015B8E
	v_mul_f32_dpp v32, v142, v32 row_newbcast:12 row_mask:0xf bank_mask:0xf// 00000000C818: 0A4040FA FF015C8E
	v_mul_f32_dpp v33, v142, v33 row_newbcast:13 row_mask:0xf bank_mask:0xf// 00000000C820: 0A4242FA FF015D8E
	v_mul_f32_dpp v34, v142, v34 row_newbcast:14 row_mask:0xf bank_mask:0xf// 00000000C828: 0A4444FA FF015E8E
	v_mul_f32_dpp v35, v142, v35 row_newbcast:15 row_mask:0xf bank_mask:0xf// 00000000C830: 0A4646FA FF015F8E
	v_mul_f32_dpp v36, v142, v36 row_newbcast:0 row_mask:0xf bank_mask:0xf// 00000000C838: 0A4848FA FF01508E
	v_mul_f32_dpp v37, v142, v37 row_newbcast:1 row_mask:0xf bank_mask:0xf// 00000000C840: 0A4A4AFA FF01518E
	v_mul_f32_dpp v38, v142, v38 row_newbcast:2 row_mask:0xf bank_mask:0xf// 00000000C848: 0A4C4CFA FF01528E
	v_mul_f32_dpp v39, v142, v39 row_newbcast:3 row_mask:0xf bank_mask:0xf// 00000000C850: 0A4E4EFA FF01538E
	v_mul_f32_dpp v40, v142, v40 row_newbcast:4 row_mask:0xf bank_mask:0xf// 00000000C858: 0A5050FA FF01548E
	v_mul_f32_dpp v41, v142, v41 row_newbcast:5 row_mask:0xf bank_mask:0xf// 00000000C860: 0A5252FA FF01558E
	v_mul_f32_dpp v42, v142, v42 row_newbcast:6 row_mask:0xf bank_mask:0xf// 00000000C868: 0A5454FA FF01568E
	v_mul_f32_dpp v43, v142, v43 row_newbcast:7 row_mask:0xf bank_mask:0xf// 00000000C870: 0A5656FA FF01578E
	v_mul_f32_dpp v44, v142, v44 row_newbcast:8 row_mask:0xf bank_mask:0xf// 00000000C878: 0A5858FA FF01588E
	v_mul_f32_dpp v45, v142, v45 row_newbcast:9 row_mask:0xf bank_mask:0xf// 00000000C880: 0A5A5AFA FF01598E
	v_mul_f32_dpp v46, v142, v46 row_newbcast:10 row_mask:0xf bank_mask:0xf// 00000000C888: 0A5C5CFA FF015A8E
	v_mul_f32_dpp v47, v142, v47 row_newbcast:11 row_mask:0xf bank_mask:0xf// 00000000C890: 0A5E5EFA FF015B8E
	v_mul_f32_dpp v48, v142, v48 row_newbcast:12 row_mask:0xf bank_mask:0xf// 00000000C898: 0A6060FA FF015C8E
	v_mul_f32_dpp v49, v142, v49 row_newbcast:13 row_mask:0xf bank_mask:0xf// 00000000C8A0: 0A6262FA FF015D8E
	v_mul_f32_dpp v50, v142, v50 row_newbcast:14 row_mask:0xf bank_mask:0xf// 00000000C8A8: 0A6464FA FF015E8E
	v_mul_f32_dpp v51, v142, v51 row_newbcast:15 row_mask:0xf bank_mask:0xf// 00000000C8B0: 0A6666FA FF015F8E
	v_mul_f32_dpp v52, v142, v52 row_newbcast:0 row_mask:0xf bank_mask:0xf// 00000000C8B8: 0A6868FA FF01508E
	v_mul_f32_dpp v53, v142, v53 row_newbcast:1 row_mask:0xf bank_mask:0xf// 00000000C8C0: 0A6A6AFA FF01518E
	v_mul_f32_dpp v54, v142, v54 row_newbcast:2 row_mask:0xf bank_mask:0xf// 00000000C8C8: 0A6C6CFA FF01528E
	v_mul_f32_dpp v55, v142, v55 row_newbcast:3 row_mask:0xf bank_mask:0xf// 00000000C8D0: 0A6E6EFA FF01538E
	v_mul_f32_dpp v56, v142, v56 row_newbcast:4 row_mask:0xf bank_mask:0xf// 00000000C8D8: 0A7070FA FF01548E
	v_mul_f32_dpp v57, v142, v57 row_newbcast:5 row_mask:0xf bank_mask:0xf// 00000000C8E0: 0A7272FA FF01558E
	v_mul_f32_dpp v58, v142, v58 row_newbcast:6 row_mask:0xf bank_mask:0xf// 00000000C8E8: 0A7474FA FF01568E
	v_mul_f32_dpp v59, v142, v59 row_newbcast:7 row_mask:0xf bank_mask:0xf// 00000000C8F0: 0A7676FA FF01578E
	v_mul_f32_dpp v60, v142, v60 row_newbcast:8 row_mask:0xf bank_mask:0xf// 00000000C8F8: 0A7878FA FF01588E
	v_mul_f32_dpp v61, v142, v61 row_newbcast:9 row_mask:0xf bank_mask:0xf// 00000000C900: 0A7A7AFA FF01598E
	v_mul_f32_dpp v62, v142, v62 row_newbcast:10 row_mask:0xf bank_mask:0xf// 00000000C908: 0A7C7CFA FF015A8E
	v_mul_f32_dpp v63, v142, v63 row_newbcast:11 row_mask:0xf bank_mask:0xf// 00000000C910: 0A7E7EFA FF015B8E
	v_mul_f32_dpp v64, v142, v64 row_newbcast:12 row_mask:0xf bank_mask:0xf// 00000000C918: 0A8080FA FF015C8E
	v_mul_f32_dpp v65, v142, v65 row_newbcast:13 row_mask:0xf bank_mask:0xf// 00000000C920: 0A8282FA FF015D8E
	v_mul_f32_dpp v66, v142, v66 row_newbcast:14 row_mask:0xf bank_mask:0xf// 00000000C928: 0A8484FA FF015E8E
	v_mul_f32_dpp v67, v142, v67 row_newbcast:15 row_mask:0xf bank_mask:0xf// 00000000C930: 0A8686FA FF015F8E
	buffer_load_dword v141, v231, s[20:23], 0 offen            // 00000000C938: E0501000 80058DE7
	s_waitcnt lgkmcnt(0)                                       // 00000000C940: BF8CC07F
	s_barrier                                                  // 00000000C944: BF8A0000
	buffer_load_dword v143, v232, s[24:27], 0 offen            // 00000000C948: E0501000 80068FE8
	s_waitcnt lgkmcnt(0)                                       // 00000000C950: BF8CC07F
	v_sub_f32_e32 v176, v176, v152                             // 00000000C954: 056131B0
	v_sub_f32_e32 v177, v177, v153                             // 00000000C958: 056333B1
	v_sub_f32_e32 v178, v178, v154                             // 00000000C95C: 056535B2
	v_sub_f32_e32 v179, v179, v155                             // 00000000C960: 056737B3
	v_mul_f32_e32 v176, s46, v176                              // 00000000C964: 0B61602E
	v_mul_f32_e32 v177, s46, v177                              // 00000000C968: 0B63622E
	v_mul_f32_e32 v178, s46, v178                              // 00000000C96C: 0B65642E
	v_mul_f32_e32 v179, s46, v179                              // 00000000C970: 0B67662E
	v_exp_f32_e32 v176, v176                                   // 00000000C974: 7F6041B0
	v_exp_f32_e32 v177, v177                                   // 00000000C978: 7F6241B1
	v_exp_f32_e32 v178, v178                                   // 00000000C97C: 7F6441B2
	v_exp_f32_e32 v179, v179                                   // 00000000C980: 7F6641B3
	v_mul_f32_e32 v176, v142, v176                             // 00000000C984: 0B61618E
	v_mul_f32_e32 v177, v142, v177                             // 00000000C988: 0B63638E
	v_mul_f32_e32 v178, v142, v178                             // 00000000C98C: 0B65658E
	v_mul_f32_e32 v179, v142, v179                             // 00000000C990: 0B67678E
	v_add_f32_e32 v176, 0x3089705f, v176                       // 00000000C994: 036160FF 3089705F
	v_add_f32_e32 v177, 0x3089705f, v177                       // 00000000C99C: 036362FF 3089705F
	v_add_f32_e32 v178, 0x3089705f, v178                       // 00000000C9A4: 036564FF 3089705F
	v_add_f32_e32 v179, 0x3089705f, v179                       // 00000000C9AC: 036766FF 3089705F
	v_rcp_f32_e32 v176, v176                                   // 00000000C9B4: 7F6045B0
	v_rcp_f32_e32 v177, v177                                   // 00000000C9B8: 7F6245B1
	v_rcp_f32_e32 v178, v178                                   // 00000000C9BC: 7F6445B2
	v_rcp_f32_e32 v179, v179                                   // 00000000C9C0: 7F6645B3
	v_mul_f32_e32 v176, 0x43700000, v176                       // 00000000C9C4: 0B6160FF 43700000
	v_mul_f32_e32 v177, 0x43700000, v177                       // 00000000C9CC: 0B6362FF 43700000
	v_mul_f32_e32 v178, 0x43700000, v178                       // 00000000C9D4: 0B6564FF 43700000
	v_mul_f32_e32 v179, 0x43700000, v179                       // 00000000C9DC: 0B6766FF 43700000
	v_mul_f32_e32 v4, v176, v4                                 // 00000000C9E4: 0A0809B0
	v_mul_f32_e32 v5, v176, v5                                 // 00000000C9E8: 0A0A0BB0
	v_mul_f32_e32 v6, v176, v6                                 // 00000000C9EC: 0A0C0DB0
	v_mul_f32_e32 v7, v176, v7                                 // 00000000C9F0: 0A0E0FB0
	v_mul_f32_e32 v8, v176, v8                                 // 00000000C9F4: 0A1011B0
	v_mul_f32_e32 v9, v176, v9                                 // 00000000C9F8: 0A1213B0
	v_mul_f32_e32 v10, v176, v10                               // 00000000C9FC: 0A1415B0
	v_mul_f32_e32 v11, v176, v11                               // 00000000CA00: 0A1617B0
	v_mul_f32_e32 v12, v176, v12                               // 00000000CA04: 0A1819B0
	v_mul_f32_e32 v13, v176, v13                               // 00000000CA08: 0A1A1BB0
	v_mul_f32_e32 v14, v176, v14                               // 00000000CA0C: 0A1C1DB0
	v_mul_f32_e32 v15, v176, v15                               // 00000000CA10: 0A1E1FB0
	v_mul_f32_e32 v16, v176, v16                               // 00000000CA14: 0A2021B0
	v_mul_f32_e32 v17, v176, v17                               // 00000000CA18: 0A2223B0
	v_mul_f32_e32 v18, v176, v18                               // 00000000CA1C: 0A2425B0
	v_mul_f32_e32 v19, v176, v19                               // 00000000CA20: 0A2627B0
	v_mul_f32_e32 v20, v177, v20                               // 00000000CA24: 0A2829B1
	v_mul_f32_e32 v21, v177, v21                               // 00000000CA28: 0A2A2BB1
	v_mul_f32_e32 v22, v177, v22                               // 00000000CA2C: 0A2C2DB1
	v_mul_f32_e32 v23, v177, v23                               // 00000000CA30: 0A2E2FB1
	v_mul_f32_e32 v24, v177, v24                               // 00000000CA34: 0A3031B1
	v_mul_f32_e32 v25, v177, v25                               // 00000000CA38: 0A3233B1
	v_mul_f32_e32 v26, v177, v26                               // 00000000CA3C: 0A3435B1
	v_mul_f32_e32 v27, v177, v27                               // 00000000CA40: 0A3637B1
	v_mul_f32_e32 v28, v177, v28                               // 00000000CA44: 0A3839B1
	v_mul_f32_e32 v29, v177, v29                               // 00000000CA48: 0A3A3BB1
	v_mul_f32_e32 v30, v177, v30                               // 00000000CA4C: 0A3C3DB1
	v_mul_f32_e32 v31, v177, v31                               // 00000000CA50: 0A3E3FB1
	v_mul_f32_e32 v32, v177, v32                               // 00000000CA54: 0A4041B1
	v_mul_f32_e32 v33, v177, v33                               // 00000000CA58: 0A4243B1
	v_mul_f32_e32 v34, v177, v34                               // 00000000CA5C: 0A4445B1
	v_mul_f32_e32 v35, v177, v35                               // 00000000CA60: 0A4647B1
	v_mul_f32_e32 v36, v178, v36                               // 00000000CA64: 0A4849B2
	v_mul_f32_e32 v37, v178, v37                               // 00000000CA68: 0A4A4BB2
	v_mul_f32_e32 v38, v178, v38                               // 00000000CA6C: 0A4C4DB2
	v_mul_f32_e32 v39, v178, v39                               // 00000000CA70: 0A4E4FB2
	v_mul_f32_e32 v40, v178, v40                               // 00000000CA74: 0A5051B2
	v_mul_f32_e32 v41, v178, v41                               // 00000000CA78: 0A5253B2
	v_mul_f32_e32 v42, v178, v42                               // 00000000CA7C: 0A5455B2
	v_mul_f32_e32 v43, v178, v43                               // 00000000CA80: 0A5657B2
	v_mul_f32_e32 v44, v178, v44                               // 00000000CA84: 0A5859B2
	v_mul_f32_e32 v45, v178, v45                               // 00000000CA88: 0A5A5BB2
	v_mul_f32_e32 v46, v178, v46                               // 00000000CA8C: 0A5C5DB2
	v_mul_f32_e32 v47, v178, v47                               // 00000000CA90: 0A5E5FB2
	v_mul_f32_e32 v48, v178, v48                               // 00000000CA94: 0A6061B2
	v_mul_f32_e32 v49, v178, v49                               // 00000000CA98: 0A6263B2
	v_mul_f32_e32 v50, v178, v50                               // 00000000CA9C: 0A6465B2
	v_mul_f32_e32 v51, v178, v51                               // 00000000CAA0: 0A6667B2
	v_mul_f32_e32 v52, v179, v52                               // 00000000CAA4: 0A6869B3
	v_mul_f32_e32 v53, v179, v53                               // 00000000CAA8: 0A6A6BB3
	v_mul_f32_e32 v54, v179, v54                               // 00000000CAAC: 0A6C6DB3
	v_mul_f32_e32 v55, v179, v55                               // 00000000CAB0: 0A6E6FB3
	v_mul_f32_e32 v56, v179, v56                               // 00000000CAB4: 0A7071B3
	v_mul_f32_e32 v57, v179, v57                               // 00000000CAB8: 0A7273B3
	v_mul_f32_e32 v58, v179, v58                               // 00000000CABC: 0A7475B3
	v_mul_f32_e32 v59, v179, v59                               // 00000000CAC0: 0A7677B3
	v_mul_f32_e32 v60, v179, v60                               // 00000000CAC4: 0A7879B3
	v_mul_f32_e32 v61, v179, v61                               // 00000000CAC8: 0A7A7BB3
	v_mul_f32_e32 v62, v179, v62                               // 00000000CACC: 0A7C7DB3
	v_mul_f32_e32 v63, v179, v63                               // 00000000CAD0: 0A7E7FB3
	v_mul_f32_e32 v64, v179, v64                               // 00000000CAD4: 0A8081B3
	v_mul_f32_e32 v65, v179, v65                               // 00000000CAD8: 0A8283B3
	v_mul_f32_e32 v66, v179, v66                               // 00000000CADC: 0A8485B3
	v_mul_f32_e32 v67, v179, v67                               // 00000000CAE0: 0A8687B3
	v_cvt_pk_fp8_f32 v4, v4, v5                                // 00000000CAE4: D2A20004 00020B04
	v_cvt_pk_fp8_f32 v4, v6, v7 op_sel:[0,0,1]                 // 00000000CAEC: D2A24004 00020F06
	v_cvt_pk_fp8_f32 v5, v8, v9                                // 00000000CAF4: D2A20005 00021308
	v_cvt_pk_fp8_f32 v5, v10, v11 op_sel:[0,0,1]               // 00000000CAFC: D2A24005 0002170A
	v_cvt_pk_fp8_f32 v6, v12, v13                              // 00000000CB04: D2A20006 00021B0C
	v_cvt_pk_fp8_f32 v6, v14, v15 op_sel:[0,0,1]               // 00000000CB0C: D2A24006 00021F0E
	v_cvt_pk_fp8_f32 v7, v16, v17                              // 00000000CB14: D2A20007 00022310
	v_cvt_pk_fp8_f32 v7, v18, v19 op_sel:[0,0,1]               // 00000000CB1C: D2A24007 00022712
	v_cvt_pk_fp8_f32 v8, v20, v21                              // 00000000CB24: D2A20008 00022B14
	v_cvt_pk_fp8_f32 v8, v22, v23 op_sel:[0,0,1]               // 00000000CB2C: D2A24008 00022F16
	v_cvt_pk_fp8_f32 v9, v24, v25                              // 00000000CB34: D2A20009 00023318
	v_cvt_pk_fp8_f32 v9, v26, v27 op_sel:[0,0,1]               // 00000000CB3C: D2A24009 0002371A
	v_cvt_pk_fp8_f32 v10, v28, v29                             // 00000000CB44: D2A2000A 00023B1C
	v_cvt_pk_fp8_f32 v10, v30, v31 op_sel:[0,0,1]              // 00000000CB4C: D2A2400A 00023F1E
	v_cvt_pk_fp8_f32 v11, v32, v33                             // 00000000CB54: D2A2000B 00024320
	v_cvt_pk_fp8_f32 v11, v34, v35 op_sel:[0,0,1]              // 00000000CB5C: D2A2400B 00024722
	v_cvt_pk_fp8_f32 v12, v36, v37                             // 00000000CB64: D2A2000C 00024B24
	v_cvt_pk_fp8_f32 v12, v38, v39 op_sel:[0,0,1]              // 00000000CB6C: D2A2400C 00024F26
	v_cvt_pk_fp8_f32 v13, v40, v41                             // 00000000CB74: D2A2000D 00025328
	v_cvt_pk_fp8_f32 v13, v42, v43 op_sel:[0,0,1]              // 00000000CB7C: D2A2400D 0002572A
	v_cvt_pk_fp8_f32 v14, v44, v45                             // 00000000CB84: D2A2000E 00025B2C
	v_cvt_pk_fp8_f32 v14, v46, v47 op_sel:[0,0,1]              // 00000000CB8C: D2A2400E 00025F2E
	v_cvt_pk_fp8_f32 v15, v48, v49                             // 00000000CB94: D2A2000F 00026330
	v_cvt_pk_fp8_f32 v15, v50, v51 op_sel:[0,0,1]              // 00000000CB9C: D2A2400F 00026732
	v_cvt_pk_fp8_f32 v16, v52, v53                             // 00000000CBA4: D2A20010 00026B34
	v_cvt_pk_fp8_f32 v16, v54, v55 op_sel:[0,0,1]              // 00000000CBAC: D2A24010 00026F36
	v_cvt_pk_fp8_f32 v17, v56, v57                             // 00000000CBB4: D2A20011 00027338
	v_cvt_pk_fp8_f32 v17, v58, v59 op_sel:[0,0,1]              // 00000000CBBC: D2A24011 0002773A
	v_cvt_pk_fp8_f32 v18, v60, v61                             // 00000000CBC4: D2A20012 00027B3C
	v_cvt_pk_fp8_f32 v18, v62, v63 op_sel:[0,0,1]              // 00000000CBCC: D2A24012 00027F3E
	v_cvt_pk_fp8_f32 v19, v64, v65                             // 00000000CBD4: D2A20013 00028340
	v_cvt_pk_fp8_f32 v19, v66, v67 op_sel:[0,0,1]              // 00000000CBDC: D2A24013 00028742
	ds_write_b32 v249, v4 offset:8192                          // 00000000CBE4: D81A2000 000004F9
	ds_write_b32 v249, v5 offset:9216                          // 00000000CBEC: D81A2400 000005F9
	ds_write_b32 v249, v6 offset:10240                         // 00000000CBF4: D81A2800 000006F9
	ds_write_b32 v249, v7 offset:11264                         // 00000000CBFC: D81A2C00 000007F9
	ds_write_b32 v249, v8 offset:12288                         // 00000000CC04: D81A3000 000008F9
	ds_write_b32 v249, v9 offset:13312                         // 00000000CC0C: D81A3400 000009F9
	ds_write_b32 v249, v10 offset:14336                        // 00000000CC14: D81A3800 00000AF9
	ds_write_b32 v249, v11 offset:15360                        // 00000000CC1C: D81A3C00 00000BF9
	ds_write_b32 v249, v12 offset:16384                        // 00000000CC24: D81A4000 00000CF9
	ds_write_b32 v249, v13 offset:17408                        // 00000000CC2C: D81A4400 00000DF9
	ds_write_b32 v249, v14 offset:18432                        // 00000000CC34: D81A4800 00000EF9
	ds_write_b32 v249, v15 offset:19456                        // 00000000CC3C: D81A4C00 00000FF9
	ds_write_b32 v249, v16 offset:20480                        // 00000000CC44: D81A5000 000010F9
	ds_write_b32 v249, v17 offset:21504                        // 00000000CC4C: D81A5400 000011F9
	ds_write_b32 v249, v18 offset:22528                        // 00000000CC54: D81A5800 000012F9
	ds_write_b32 v249, v19 offset:23552                        // 00000000CC5C: D81A5C00 000013F9
	v_rcp_f32_e32 v144, v176                                   // 00000000CC64: 7F2045B0
	v_rcp_f32_e32 v146, v177                                   // 00000000CC68: 7F2445B1
	v_rcp_f32_e32 v148, v178                                   // 00000000CC6C: 7F2845B2
	v_rcp_f32_e32 v150, v179                                   // 00000000CC70: 7F2C45B3
	v_mov_b32_e32 v145, v144                                   // 00000000CC74: 7F220390
	v_mov_b32_e32 v147, v146                                   // 00000000CC78: 7F260392
	v_mov_b32_e32 v149, v148                                   // 00000000CC7C: 7F2A0394
	v_mov_b32_e32 v151, v150                                   // 00000000CC80: 7F2E0396
	v_pk_add_f32 v[100:101], v[100:101], v[68:69]              // 00000000CC84: D3B24064 18028964
	v_pk_add_f32 v[102:103], v[102:103], v[70:71]              // 00000000CC8C: D3B24066 18028D66
	v_pk_add_f32 v[104:105], v[104:105], v[72:73]              // 00000000CC94: D3B24068 18029168
	v_pk_add_f32 v[106:107], v[106:107], v[74:75]              // 00000000CC9C: D3B2406A 1802956A
	v_pk_add_f32 v[108:109], v[108:109], v[76:77]              // 00000000CCA4: D3B2406C 1802996C
	v_pk_add_f32 v[110:111], v[110:111], v[78:79]              // 00000000CCAC: D3B2406E 18029D6E
	v_pk_add_f32 v[112:113], v[112:113], v[80:81]              // 00000000CCB4: D3B24070 1802A170
	v_pk_add_f32 v[114:115], v[114:115], v[82:83]              // 00000000CCBC: D3B24072 1802A572
	v_pk_add_f32 v[116:117], v[116:117], v[84:85]              // 00000000CCC4: D3B24074 1802A974
	v_pk_add_f32 v[118:119], v[118:119], v[86:87]              // 00000000CCCC: D3B24076 1802AD76
	v_pk_add_f32 v[120:121], v[120:121], v[88:89]              // 00000000CCD4: D3B24078 1802B178
	v_pk_add_f32 v[122:123], v[122:123], v[90:91]              // 00000000CCDC: D3B2407A 1802B57A
	v_pk_add_f32 v[124:125], v[124:125], v[92:93]              // 00000000CCE4: D3B2407C 1802B97C
	v_pk_add_f32 v[126:127], v[126:127], v[94:95]              // 00000000CCEC: D3B2407E 1802BD7E
	v_pk_add_f32 v[128:129], v[128:129], v[96:97]              // 00000000CCF4: D3B24080 1802C180
	v_pk_add_f32 v[130:131], v[130:131], v[98:99]              // 00000000CCFC: D3B24082 1802C582
	s_waitcnt lgkmcnt(0)                                       // 00000000CD04: BF8CC07F
	s_barrier                                                  // 00000000CD08: BF8A0000
	ds_read_b128 v[4:7], v250 offset:8192                      // 00000000CD0C: D9FE2000 040000FA
	ds_read_b128 v[8:11], v250 offset:9216                     // 00000000CD14: D9FE2400 080000FA
	ds_read_b128 v[12:15], v250 offset:10240                   // 00000000CD1C: D9FE2800 0C0000FA
	ds_read_b128 v[16:19], v250 offset:11264                   // 00000000CD24: D9FE2C00 100000FA
	ds_read_b128 v[20:23], v250 offset:12288                   // 00000000CD2C: D9FE3000 140000FA
	ds_read_b128 v[24:27], v250 offset:13312                   // 00000000CD34: D9FE3400 180000FA
	ds_read_b128 v[28:31], v250 offset:14336                   // 00000000CD3C: D9FE3800 1C0000FA
	ds_read_b128 v[32:35], v250 offset:15360                   // 00000000CD44: D9FE3C00 200000FA
	ds_read_b128 v[36:39], v250 offset:16384                   // 00000000CD4C: D9FE4000 240000FA
	ds_read_b128 v[40:43], v250 offset:17408                   // 00000000CD54: D9FE4400 280000FA
	ds_read_b128 v[44:47], v250 offset:18432                   // 00000000CD5C: D9FE4800 2C0000FA
	ds_read_b128 v[48:51], v250 offset:19456                   // 00000000CD64: D9FE4C00 300000FA
	ds_read_b128 v[52:55], v250 offset:20480                   // 00000000CD6C: D9FE5000 340000FA
	ds_read_b128 v[56:59], v250 offset:21504                   // 00000000CD74: D9FE5400 380000FA
	ds_read_b128 v[60:63], v250 offset:22528                   // 00000000CD7C: D9FE5800 3C0000FA
	ds_read_b128 v[64:67], v250 offset:23552                   // 00000000CD84: D9FE5C00 400000FA
	s_waitcnt vmcnt(10)                                        // 00000000CD8C: BF8C0F7A
	s_waitcnt vmcnt(63) expcnt(7) lgkmcnt(15)                  // 00000000CD90: BF8CCF7F
	v_mfma_f32_16x16x32_fp8_fp8 v[68:71], a[96:97], v[4:5], 0  // 00000000CD94: D3F30044 0A020960
	v_mfma_f32_16x16x32_fp8_fp8 v[72:75], a[112:113], v[4:5], 0// 00000000CD9C: D3F30048 0A020970
	v_mfma_f32_16x16x32_fp8_fp8 v[68:71], a[98:99], v[6:7], v[68:71]// 00000000CDA4: D3F30044 0D120D62
	buffer_load_dwordx4 a[128:131], v227, s[16:19], 0 offen    // 00000000CDAC: E05C1000 808480E3
	v_mfma_f32_16x16x32_fp8_fp8 v[72:75], a[114:115], v[6:7], v[72:75]// 00000000CDB4: D3F30048 0D220D72
	s_waitcnt lgkmcnt(14)                                      // 00000000CDBC: BF8CCE7F
	v_mfma_f32_16x16x32_fp8_fp8 v[68:71], a[100:101], v[8:9], v[68:71]// 00000000CDC0: D3F30044 0D121164
	v_mfma_f32_16x16x32_fp8_fp8 v[72:75], a[116:117], v[8:9], v[72:75]// 00000000CDC8: D3F30048 0D221174
	v_mfma_f32_16x16x32_fp8_fp8 v[68:71], a[102:103], v[10:11], v[68:71]// 00000000CDD0: D3F30044 0D121566
	buffer_load_dwordx4 a[132:135], v228, s[16:19], 0 offen    // 00000000CDD8: E05C1000 808484E4
	v_mfma_f32_16x16x32_fp8_fp8 v[72:75], a[118:119], v[10:11], v[72:75]// 00000000CDE0: D3F30048 0D221576
	s_waitcnt lgkmcnt(13)                                      // 00000000CDE8: BF8CCD7F
	v_mfma_f32_16x16x32_fp8_fp8 v[68:71], a[104:105], v[12:13], v[68:71]// 00000000CDEC: D3F30044 0D121968
	v_mfma_f32_16x16x32_fp8_fp8 v[72:75], a[120:121], v[12:13], v[72:75]// 00000000CDF4: D3F30048 0D221978
	v_mfma_f32_16x16x32_fp8_fp8 v[68:71], a[106:107], v[14:15], v[68:71]// 00000000CDFC: D3F30044 0D121D6A
	buffer_load_dwordx4 a[136:139], v229, s[16:19], 0 offen    // 00000000CE04: E05C1000 808488E5
	v_mfma_f32_16x16x32_fp8_fp8 v[72:75], a[122:123], v[14:15], v[72:75]// 00000000CE0C: D3F30048 0D221D7A
	s_waitcnt lgkmcnt(12)                                      // 00000000CE14: BF8CCC7F
	v_mfma_f32_16x16x32_fp8_fp8 v[68:71], a[108:109], v[16:17], v[68:71]// 00000000CE18: D3F30044 0D12216C
	v_mfma_f32_16x16x32_fp8_fp8 v[72:75], a[124:125], v[16:17], v[72:75]// 00000000CE20: D3F30048 0D22217C
	v_mfma_f32_16x16x32_fp8_fp8 v[68:71], a[110:111], v[18:19], v[68:71]// 00000000CE28: D3F30044 0D12256E
	buffer_load_dwordx4 a[140:143], v230, s[16:19], 0 offen    // 00000000CE30: E05C1000 80848CE6
	v_mfma_f32_16x16x32_fp8_fp8 v[72:75], a[126:127], v[18:19], v[72:75]// 00000000CE38: D3F30048 0D22257E
	s_waitcnt lgkmcnt(11)                                      // 00000000CE40: BF8CCB7F
	v_mfma_f32_16x16x32_fp8_fp8 v[76:79], a[96:97], v[20:21], 0// 00000000CE44: D3F3004C 0A022960
	v_mfma_f32_16x16x32_fp8_fp8 v[80:83], a[112:113], v[20:21], 0// 00000000CE4C: D3F30050 0A022970
	v_mfma_f32_16x16x32_fp8_fp8 v[76:79], a[98:99], v[22:23], v[76:79]// 00000000CE54: D3F3004C 0D322D62
	buffer_load_dwordx4 a[144:147], v227, s[16:19], 0 offen offset:1024// 00000000CE5C: E05C1400 808490E3
	v_mfma_f32_16x16x32_fp8_fp8 v[80:83], a[114:115], v[22:23], v[80:83]// 00000000CE64: D3F30050 0D422D72
	s_waitcnt lgkmcnt(10)                                      // 00000000CE6C: BF8CCA7F
	v_mfma_f32_16x16x32_fp8_fp8 v[76:79], a[100:101], v[24:25], v[76:79]// 00000000CE70: D3F3004C 0D323164
	v_mfma_f32_16x16x32_fp8_fp8 v[80:83], a[116:117], v[24:25], v[80:83]// 00000000CE78: D3F30050 0D423174
	v_mfma_f32_16x16x32_fp8_fp8 v[76:79], a[102:103], v[26:27], v[76:79]// 00000000CE80: D3F3004C 0D323566
	buffer_load_dwordx4 a[148:151], v228, s[16:19], 0 offen offset:1024// 00000000CE88: E05C1400 808494E4
	v_mfma_f32_16x16x32_fp8_fp8 v[80:83], a[118:119], v[26:27], v[80:83]// 00000000CE90: D3F30050 0D423576
	s_waitcnt lgkmcnt(9)                                       // 00000000CE98: BF8CC97F
	v_mfma_f32_16x16x32_fp8_fp8 v[76:79], a[104:105], v[28:29], v[76:79]// 00000000CE9C: D3F3004C 0D323968
	v_mfma_f32_16x16x32_fp8_fp8 v[80:83], a[120:121], v[28:29], v[80:83]// 00000000CEA4: D3F30050 0D423978
	v_mfma_f32_16x16x32_fp8_fp8 v[76:79], a[106:107], v[30:31], v[76:79]// 00000000CEAC: D3F3004C 0D323D6A
	buffer_load_dwordx4 a[152:155], v229, s[16:19], 0 offen offset:1024// 00000000CEB4: E05C1400 808498E5
	v_mfma_f32_16x16x32_fp8_fp8 v[80:83], a[122:123], v[30:31], v[80:83]// 00000000CEBC: D3F30050 0D423D7A
	s_waitcnt lgkmcnt(8)                                       // 00000000CEC4: BF8CC87F
	v_mfma_f32_16x16x32_fp8_fp8 v[76:79], a[108:109], v[32:33], v[76:79]// 00000000CEC8: D3F3004C 0D32416C
	v_mfma_f32_16x16x32_fp8_fp8 v[80:83], a[124:125], v[32:33], v[80:83]// 00000000CED0: D3F30050 0D42417C
	v_mfma_f32_16x16x32_fp8_fp8 v[76:79], a[110:111], v[34:35], v[76:79]// 00000000CED8: D3F3004C 0D32456E
	buffer_load_dwordx4 a[156:159], v230, s[16:19], 0 offen offset:1024// 00000000CEE0: E05C1400 80849CE6
	v_mfma_f32_16x16x32_fp8_fp8 v[80:83], a[126:127], v[34:35], v[80:83]// 00000000CEE8: D3F30050 0D42457E
	s_waitcnt lgkmcnt(7)                                       // 00000000CEF0: BF8CC77F
	v_mfma_f32_16x16x32_fp8_fp8 v[84:87], a[96:97], v[36:37], 0// 00000000CEF4: D3F30054 0A024960
	v_mfma_f32_16x16x32_fp8_fp8 v[88:91], a[112:113], v[36:37], 0// 00000000CEFC: D3F30058 0A024970
	v_mfma_f32_16x16x32_fp8_fp8 v[84:87], a[98:99], v[38:39], v[84:87]// 00000000CF04: D3F30054 0D524D62
	v_mfma_f32_16x16x32_fp8_fp8 v[88:91], a[114:115], v[38:39], v[88:91]// 00000000CF0C: D3F30058 0D624D72
	s_waitcnt lgkmcnt(6)                                       // 00000000CF14: BF8CC67F
	v_mfma_f32_16x16x32_fp8_fp8 v[84:87], a[100:101], v[40:41], v[84:87]// 00000000CF18: D3F30054 0D525164
	v_mfma_f32_16x16x32_fp8_fp8 v[88:91], a[116:117], v[40:41], v[88:91]// 00000000CF20: D3F30058 0D625174
	v_mfma_f32_16x16x32_fp8_fp8 v[84:87], a[102:103], v[42:43], v[84:87]// 00000000CF28: D3F30054 0D525566
	v_mfma_f32_16x16x32_fp8_fp8 v[88:91], a[118:119], v[42:43], v[88:91]// 00000000CF30: D3F30058 0D625576
	s_waitcnt lgkmcnt(5)                                       // 00000000CF38: BF8CC57F
	v_mfma_f32_16x16x32_fp8_fp8 v[84:87], a[104:105], v[44:45], v[84:87]// 00000000CF3C: D3F30054 0D525968
	v_mfma_f32_16x16x32_fp8_fp8 v[88:91], a[120:121], v[44:45], v[88:91]// 00000000CF44: D3F30058 0D625978
	v_mfma_f32_16x16x32_fp8_fp8 v[84:87], a[106:107], v[46:47], v[84:87]// 00000000CF4C: D3F30054 0D525D6A
	v_mfma_f32_16x16x32_fp8_fp8 v[88:91], a[122:123], v[46:47], v[88:91]// 00000000CF54: D3F30058 0D625D7A
	s_waitcnt lgkmcnt(4)                                       // 00000000CF5C: BF8CC47F
	v_mfma_f32_16x16x32_fp8_fp8 v[84:87], a[108:109], v[48:49], v[84:87]// 00000000CF60: D3F30054 0D52616C
	v_mfma_f32_16x16x32_fp8_fp8 v[88:91], a[124:125], v[48:49], v[88:91]// 00000000CF68: D3F30058 0D62617C
	v_mfma_f32_16x16x32_fp8_fp8 v[84:87], a[110:111], v[50:51], v[84:87]// 00000000CF70: D3F30054 0D52656E
	v_mfma_f32_16x16x32_fp8_fp8 v[88:91], a[126:127], v[50:51], v[88:91]// 00000000CF78: D3F30058 0D62657E
	s_waitcnt lgkmcnt(3)                                       // 00000000CF80: BF8CC37F
	v_mfma_f32_16x16x32_fp8_fp8 v[92:95], a[96:97], v[52:53], 0// 00000000CF84: D3F3005C 0A026960
	v_mfma_f32_16x16x32_fp8_fp8 v[96:99], a[112:113], v[52:53], 0// 00000000CF8C: D3F30060 0A026970
	v_mfma_f32_16x16x32_fp8_fp8 v[92:95], a[98:99], v[54:55], v[92:95]// 00000000CF94: D3F3005C 0D726D62
	v_mfma_f32_16x16x32_fp8_fp8 v[96:99], a[114:115], v[54:55], v[96:99]// 00000000CF9C: D3F30060 0D826D72
	s_waitcnt lgkmcnt(2)                                       // 00000000CFA4: BF8CC27F
	v_mfma_f32_16x16x32_fp8_fp8 v[92:95], a[100:101], v[56:57], v[92:95]// 00000000CFA8: D3F3005C 0D727164
	v_mfma_f32_16x16x32_fp8_fp8 v[96:99], a[116:117], v[56:57], v[96:99]// 00000000CFB0: D3F30060 0D827174
	v_mfma_f32_16x16x32_fp8_fp8 v[92:95], a[102:103], v[58:59], v[92:95]// 00000000CFB8: D3F3005C 0D727566
	v_mfma_f32_16x16x32_fp8_fp8 v[96:99], a[118:119], v[58:59], v[96:99]// 00000000CFC0: D3F30060 0D827576
	s_waitcnt lgkmcnt(1)                                       // 00000000CFC8: BF8CC17F
	v_mfma_f32_16x16x32_fp8_fp8 v[92:95], a[104:105], v[60:61], v[92:95]// 00000000CFCC: D3F3005C 0D727968
	v_mfma_f32_16x16x32_fp8_fp8 v[96:99], a[120:121], v[60:61], v[96:99]// 00000000CFD4: D3F30060 0D827978
	v_mfma_f32_16x16x32_fp8_fp8 v[92:95], a[106:107], v[62:63], v[92:95]// 00000000CFDC: D3F3005C 0D727D6A
	v_mfma_f32_16x16x32_fp8_fp8 v[96:99], a[122:123], v[62:63], v[96:99]// 00000000CFE4: D3F30060 0D827D7A
	s_waitcnt lgkmcnt(0)                                       // 00000000CFEC: BF8CC07F
	v_mfma_f32_16x16x32_fp8_fp8 v[92:95], a[108:109], v[64:65], v[92:95]// 00000000CFF0: D3F3005C 0D72816C
	v_mfma_f32_16x16x32_fp8_fp8 v[96:99], a[124:125], v[64:65], v[96:99]// 00000000CFF8: D3F30060 0D82817C
	v_mfma_f32_16x16x32_fp8_fp8 v[92:95], a[110:111], v[66:67], v[92:95]// 00000000D000: D3F3005C 0D72856E
	v_mfma_f32_16x16x32_fp8_fp8 v[96:99], a[126:127], v[66:67], v[96:99]// 00000000D008: D3F30060 0D82857E
	s_addk_i32 s64, 0x100                                      // 00000000D010: B7400100
	s_cmp_lt_i32 s64, s63                                      // 00000000D014: BF043F40
	s_cbranch_scc0 label_4B0D                                  // 00000000D018: BF842086
	s_waitcnt vmcnt(10)                                        // 00000000D01C: BF8C0F7A
	v_mfma_f32_16x16x32_fp8_fp8 v[4:7], a[64:65], a[0:1], 0    // 00000000D020: D3F30004 1A020140
	s_add_u32 s12, s86, s69                                    // 00000000D028: 800C4556
	s_addc_u32 s13, s87, 0                                     // 00000000D02C: 820D8057
	v_mfma_f32_16x16x32_fp8_fp8 v[4:7], a[66:67], a[2:3], v[4:7]// 00000000D030: D3F30004 1C120542
	s_add_u32 s16, s88, s70                                    // 00000000D038: 80104658
	s_addc_u32 s17, s89, 0                                     // 00000000D03C: 82118059
	v_mfma_f32_16x16x32_fp8_fp8 v[4:7], a[68:69], a[4:5], v[4:7]// 00000000D040: D3F30004 1C120944
	buffer_load_dwordx4 a[32:35], v225, s[12:15], 0 offen      // 00000000D048: E05C1000 808320E1
	v_mfma_f32_16x16x32_fp8_fp8 v[4:7], a[70:71], a[6:7], v[4:7]// 00000000D050: D3F30004 1C120D46
	s_add_u32 s20, s90, s71                                    // 00000000D058: 8014475A
	s_addc_u32 s21, s91, 0                                     // 00000000D05C: 8215805B
	v_mfma_f32_16x16x32_fp8_fp8 v[8:11], a[72:73], a[0:1], 0   // 00000000D060: D3F30008 1A020148
	s_add_u32 s24, s92, s71                                    // 00000000D068: 8018475C
	s_addc_u32 s25, s93, 0                                     // 00000000D06C: 8219805D
	v_mfma_f32_16x16x32_fp8_fp8 v[8:11], a[74:75], a[2:3], v[8:11]// 00000000D070: D3F30008 1C22054A
	s_add_u32 s69, s69, 0x1000                                 // 00000000D078: 8045FF45 00001000
	s_add_u32 s70, s70, 0x8000                                 // 00000000D080: 8046FF46 00008000
	v_mfma_f32_16x16x32_fp8_fp8 v[8:11], a[76:77], a[4:5], v[8:11]// 00000000D088: D3F30008 1C22094C
	buffer_load_dwordx4 a[36:39], v226, s[12:15], 0 offen      // 00000000D090: E05C1000 808324E2
	v_mfma_f32_16x16x32_fp8_fp8 v[8:11], a[78:79], a[6:7], v[8:11]// 00000000D098: D3F30008 1C220D4E
	v_mfma_f32_16x16x32_fp8_fp8 v[12:15], a[80:81], a[0:1], 0  // 00000000D0A0: D3F3000C 1A020150
	v_mfma_f32_16x16x32_fp8_fp8 v[12:15], a[82:83], a[2:3], v[12:15]// 00000000D0A8: D3F3000C 1C320552
	v_mfma_f32_16x16x32_fp8_fp8 v[12:15], a[84:85], a[4:5], v[12:15]// 00000000D0B0: D3F3000C 1C320954
	buffer_load_dwordx4 a[40:43], v225, s[12:15], 0 offen offset:1024// 00000000D0B8: E05C1400 808328E1
	v_mfma_f32_16x16x32_fp8_fp8 v[12:15], a[86:87], a[6:7], v[12:15]// 00000000D0C0: D3F3000C 1C320D56
	v_mfma_f32_16x16x32_fp8_fp8 v[16:19], a[88:89], a[0:1], 0  // 00000000D0C8: D3F30010 1A020158
	v_mfma_f32_16x16x32_fp8_fp8 v[16:19], a[90:91], a[2:3], v[16:19]// 00000000D0D0: D3F30010 1C42055A
	v_mfma_f32_16x16x32_fp8_fp8 v[16:19], a[92:93], a[4:5], v[16:19]// 00000000D0D8: D3F30010 1C42095C
	buffer_load_dwordx4 a[44:47], v226, s[12:15], 0 offen offset:1024// 00000000D0E0: E05C1400 80832CE2
	v_mfma_f32_16x16x32_fp8_fp8 v[16:19], a[94:95], a[6:7], v[16:19]// 00000000D0E8: D3F30010 1C420D5E
	v_mfma_f32_16x16x32_fp8_fp8 v[20:23], a[64:65], a[8:9], 0  // 00000000D0F0: D3F30014 1A021140
	v_mfma_f32_16x16x32_fp8_fp8 v[20:23], a[66:67], a[10:11], v[20:23]// 00000000D0F8: D3F30014 1C521542
	v_mfma_f32_16x16x32_fp8_fp8 v[20:23], a[68:69], a[12:13], v[20:23]// 00000000D100: D3F30014 1C521944
	buffer_load_dwordx4 a[48:51], v225, s[12:15], 0 offen offset:2048// 00000000D108: E05C1800 808330E1
	v_mfma_f32_16x16x32_fp8_fp8 v[20:23], a[70:71], a[14:15], v[20:23]// 00000000D110: D3F30014 1C521D46
	v_mfma_f32_16x16x32_fp8_fp8 v[24:27], a[72:73], a[8:9], 0  // 00000000D118: D3F30018 1A021148
	v_mfma_f32_16x16x32_fp8_fp8 v[24:27], a[74:75], a[10:11], v[24:27]// 00000000D120: D3F30018 1C62154A
	v_mfma_f32_16x16x32_fp8_fp8 v[24:27], a[76:77], a[12:13], v[24:27]// 00000000D128: D3F30018 1C62194C
	buffer_load_dwordx4 a[52:55], v226, s[12:15], 0 offen offset:2048// 00000000D130: E05C1800 808334E2
	v_mfma_f32_16x16x32_fp8_fp8 v[24:27], a[78:79], a[14:15], v[24:27]// 00000000D138: D3F30018 1C621D4E
	v_mfma_f32_16x16x32_fp8_fp8 v[28:31], a[80:81], a[8:9], 0  // 00000000D140: D3F3001C 1A021150
	v_mfma_f32_16x16x32_fp8_fp8 v[28:31], a[82:83], a[10:11], v[28:31]// 00000000D148: D3F3001C 1C721552
	v_mfma_f32_16x16x32_fp8_fp8 v[28:31], a[84:85], a[12:13], v[28:31]// 00000000D150: D3F3001C 1C721954
	buffer_load_dwordx4 a[56:59], v225, s[12:15], 0 offen offset:3072// 00000000D158: E05C1C00 808338E1
	v_mfma_f32_16x16x32_fp8_fp8 v[28:31], a[86:87], a[14:15], v[28:31]// 00000000D160: D3F3001C 1C721D56
	v_mfma_f32_16x16x32_fp8_fp8 v[32:35], a[88:89], a[8:9], 0  // 00000000D168: D3F30020 1A021158
	v_mfma_f32_16x16x32_fp8_fp8 v[32:35], a[90:91], a[10:11], v[32:35]// 00000000D170: D3F30020 1C82155A
	v_mfma_f32_16x16x32_fp8_fp8 v[32:35], a[92:93], a[12:13], v[32:35]// 00000000D178: D3F30020 1C82195C
	buffer_load_dwordx4 a[60:63], v226, s[12:15], 0 offen offset:3072// 00000000D180: E05C1C00 80833CE2
	v_mfma_f32_16x16x32_fp8_fp8 v[32:35], a[94:95], a[14:15], v[32:35]// 00000000D188: D3F30020 1C821D5E
	v_mfma_f32_16x16x32_fp8_fp8 v[36:39], a[64:65], a[16:17], 0// 00000000D190: D3F30024 1A022140
	v_mfma_f32_16x16x32_fp8_fp8 v[36:39], a[66:67], a[18:19], v[36:39]// 00000000D198: D3F30024 1C922542
	v_mfma_f32_16x16x32_fp8_fp8 v[36:39], a[68:69], a[20:21], v[36:39]// 00000000D1A0: D3F30024 1C922944
	v_mfma_f32_16x16x32_fp8_fp8 v[36:39], a[70:71], a[22:23], v[36:39]// 00000000D1A8: D3F30024 1C922D46
	v_mfma_f32_16x16x32_fp8_fp8 v[40:43], a[72:73], a[16:17], 0// 00000000D1B0: D3F30028 1A022148
	v_mfma_f32_16x16x32_fp8_fp8 v[40:43], a[74:75], a[18:19], v[40:43]// 00000000D1B8: D3F30028 1CA2254A
	v_mfma_f32_16x16x32_fp8_fp8 v[40:43], a[76:77], a[20:21], v[40:43]// 00000000D1C0: D3F30028 1CA2294C
	v_mfma_f32_16x16x32_fp8_fp8 v[40:43], a[78:79], a[22:23], v[40:43]// 00000000D1C8: D3F30028 1CA22D4E
	v_mfma_f32_16x16x32_fp8_fp8 v[44:47], a[80:81], a[16:17], 0// 00000000D1D0: D3F3002C 1A022150
	v_mfma_f32_16x16x32_fp8_fp8 v[44:47], a[82:83], a[18:19], v[44:47]// 00000000D1D8: D3F3002C 1CB22552
	v_mfma_f32_16x16x32_fp8_fp8 v[44:47], a[84:85], a[20:21], v[44:47]// 00000000D1E0: D3F3002C 1CB22954
	v_mfma_f32_16x16x32_fp8_fp8 v[44:47], a[86:87], a[22:23], v[44:47]// 00000000D1E8: D3F3002C 1CB22D56
	v_mfma_f32_16x16x32_fp8_fp8 v[48:51], a[88:89], a[16:17], 0// 00000000D1F0: D3F30030 1A022158
	v_mfma_f32_16x16x32_fp8_fp8 v[48:51], a[90:91], a[18:19], v[48:51]// 00000000D1F8: D3F30030 1CC2255A
	v_mfma_f32_16x16x32_fp8_fp8 v[48:51], a[92:93], a[20:21], v[48:51]// 00000000D200: D3F30030 1CC2295C
	v_mfma_f32_16x16x32_fp8_fp8 v[48:51], a[94:95], a[22:23], v[48:51]// 00000000D208: D3F30030 1CC22D5E
	v_mfma_f32_16x16x32_fp8_fp8 v[52:55], a[64:65], a[24:25], 0// 00000000D210: D3F30034 1A023140
	v_mfma_f32_16x16x32_fp8_fp8 v[52:55], a[66:67], a[26:27], v[52:55]// 00000000D218: D3F30034 1CD23542
	v_mfma_f32_16x16x32_fp8_fp8 v[52:55], a[68:69], a[28:29], v[52:55]// 00000000D220: D3F30034 1CD23944
	v_mfma_f32_16x16x32_fp8_fp8 v[52:55], a[70:71], a[30:31], v[52:55]// 00000000D228: D3F30034 1CD23D46
	v_mfma_f32_16x16x32_fp8_fp8 v[56:59], a[72:73], a[24:25], 0// 00000000D230: D3F30038 1A023148
	v_mfma_f32_16x16x32_fp8_fp8 v[56:59], a[74:75], a[26:27], v[56:59]// 00000000D238: D3F30038 1CE2354A
	v_mfma_f32_16x16x32_fp8_fp8 v[56:59], a[76:77], a[28:29], v[56:59]// 00000000D240: D3F30038 1CE2394C
	v_mfma_f32_16x16x32_fp8_fp8 v[56:59], a[78:79], a[30:31], v[56:59]// 00000000D248: D3F30038 1CE23D4E
	v_mfma_f32_16x16x32_fp8_fp8 v[60:63], a[80:81], a[24:25], 0// 00000000D250: D3F3003C 1A023150
	v_mfma_f32_16x16x32_fp8_fp8 v[60:63], a[82:83], a[26:27], v[60:63]// 00000000D258: D3F3003C 1CF23552
	v_mfma_f32_16x16x32_fp8_fp8 v[60:63], a[84:85], a[28:29], v[60:63]// 00000000D260: D3F3003C 1CF23954
	v_mfma_f32_16x16x32_fp8_fp8 v[60:63], a[86:87], a[30:31], v[60:63]// 00000000D268: D3F3003C 1CF23D56
	v_mfma_f32_16x16x32_fp8_fp8 v[64:67], a[88:89], a[24:25], 0// 00000000D270: D3F30040 1A023158
	v_mfma_f32_16x16x32_fp8_fp8 v[64:67], a[90:91], a[26:27], v[64:67]// 00000000D278: D3F30040 1D02355A
	v_mfma_f32_16x16x32_fp8_fp8 v[64:67], a[92:93], a[28:29], v[64:67]// 00000000D280: D3F30040 1D02395C
	v_mfma_f32_16x16x32_fp8_fp8 v[64:67], a[94:95], a[30:31], v[64:67]// 00000000D288: D3F30040 1D023D5E
	s_waitcnt vmcnt(16)                                        // 00000000D290: BF8C4F70
	v_pk_mul_f32 v[4:5], v[132:133], v[4:5]                    // 00000000D294: D3B14004 18020984
	v_pk_mul_f32 v[6:7], v[132:133], v[6:7]                    // 00000000D29C: D3B14006 18020D84
	v_mul_f32_dpp v4, v141, v4 row_newbcast:0 row_mask:0xf bank_mask:0xf// 00000000D2A4: 0A0808FA FF01508D
	v_mul_f32_dpp v5, v141, v5 row_newbcast:1 row_mask:0xf bank_mask:0xf// 00000000D2AC: 0A0A0AFA FF01518D
	v_mul_f32_dpp v6, v141, v6 row_newbcast:2 row_mask:0xf bank_mask:0xf// 00000000D2B4: 0A0C0CFA FF01528D
	v_mul_f32_dpp v7, v141, v7 row_newbcast:3 row_mask:0xf bank_mask:0xf// 00000000D2BC: 0A0E0EFA FF01538D
	v_pk_mul_f32 v[8:9], v[132:133], v[8:9]                    // 00000000D2C4: D3B14008 18021184
	v_pk_mul_f32 v[10:11], v[132:133], v[10:11]                // 00000000D2CC: D3B1400A 18021584
	v_mul_f32_dpp v8, v141, v8 row_newbcast:4 row_mask:0xf bank_mask:0xf// 00000000D2D4: 0A1010FA FF01548D
	v_mul_f32_dpp v9, v141, v9 row_newbcast:5 row_mask:0xf bank_mask:0xf// 00000000D2DC: 0A1212FA FF01558D
	v_mul_f32_dpp v10, v141, v10 row_newbcast:6 row_mask:0xf bank_mask:0xf// 00000000D2E4: 0A1414FA FF01568D
	v_mul_f32_dpp v11, v141, v11 row_newbcast:7 row_mask:0xf bank_mask:0xf// 00000000D2EC: 0A1616FA FF01578D
	v_pk_mul_f32 v[12:13], v[132:133], v[12:13]                // 00000000D2F4: D3B1400C 18021984
	v_pk_mul_f32 v[14:15], v[132:133], v[14:15]                // 00000000D2FC: D3B1400E 18021D84
	v_mul_f32_dpp v12, v141, v12 row_newbcast:8 row_mask:0xf bank_mask:0xf// 00000000D304: 0A1818FA FF01588D
	v_mul_f32_dpp v13, v141, v13 row_newbcast:9 row_mask:0xf bank_mask:0xf// 00000000D30C: 0A1A1AFA FF01598D
	v_mul_f32_dpp v14, v141, v14 row_newbcast:10 row_mask:0xf bank_mask:0xf// 00000000D314: 0A1C1CFA FF015A8D
	v_mul_f32_dpp v15, v141, v15 row_newbcast:11 row_mask:0xf bank_mask:0xf// 00000000D31C: 0A1E1EFA FF015B8D
	v_pk_mul_f32 v[16:17], v[132:133], v[16:17]                // 00000000D324: D3B14010 18022184
	v_pk_mul_f32 v[18:19], v[132:133], v[18:19]                // 00000000D32C: D3B14012 18022584
	v_mul_f32_dpp v16, v141, v16 row_newbcast:12 row_mask:0xf bank_mask:0xf// 00000000D334: 0A2020FA FF015C8D
	v_mul_f32_dpp v17, v141, v17 row_newbcast:13 row_mask:0xf bank_mask:0xf// 00000000D33C: 0A2222FA FF015D8D
	v_mul_f32_dpp v18, v141, v18 row_newbcast:14 row_mask:0xf bank_mask:0xf// 00000000D344: 0A2424FA FF015E8D
	v_mul_f32_dpp v19, v141, v19 row_newbcast:15 row_mask:0xf bank_mask:0xf// 00000000D34C: 0A2626FA FF015F8D
	v_pk_mul_f32 v[20:21], v[134:135], v[20:21]                // 00000000D354: D3B14014 18022986
	v_pk_mul_f32 v[22:23], v[134:135], v[22:23]                // 00000000D35C: D3B14016 18022D86
	v_mul_f32_dpp v20, v141, v20 row_newbcast:0 row_mask:0xf bank_mask:0xf// 00000000D364: 0A2828FA FF01508D
	v_mul_f32_dpp v21, v141, v21 row_newbcast:1 row_mask:0xf bank_mask:0xf// 00000000D36C: 0A2A2AFA FF01518D
	v_mul_f32_dpp v22, v141, v22 row_newbcast:2 row_mask:0xf bank_mask:0xf// 00000000D374: 0A2C2CFA FF01528D
	v_mul_f32_dpp v23, v141, v23 row_newbcast:3 row_mask:0xf bank_mask:0xf// 00000000D37C: 0A2E2EFA FF01538D
	v_pk_mul_f32 v[24:25], v[134:135], v[24:25]                // 00000000D384: D3B14018 18023186
	v_pk_mul_f32 v[26:27], v[134:135], v[26:27]                // 00000000D38C: D3B1401A 18023586
	v_mul_f32_dpp v24, v141, v24 row_newbcast:4 row_mask:0xf bank_mask:0xf// 00000000D394: 0A3030FA FF01548D
	v_mul_f32_dpp v25, v141, v25 row_newbcast:5 row_mask:0xf bank_mask:0xf// 00000000D39C: 0A3232FA FF01558D
	v_mul_f32_dpp v26, v141, v26 row_newbcast:6 row_mask:0xf bank_mask:0xf// 00000000D3A4: 0A3434FA FF01568D
	v_mul_f32_dpp v27, v141, v27 row_newbcast:7 row_mask:0xf bank_mask:0xf// 00000000D3AC: 0A3636FA FF01578D
	v_pk_mul_f32 v[28:29], v[134:135], v[28:29]                // 00000000D3B4: D3B1401C 18023986
	v_pk_mul_f32 v[30:31], v[134:135], v[30:31]                // 00000000D3BC: D3B1401E 18023D86
	v_mul_f32_dpp v28, v141, v28 row_newbcast:8 row_mask:0xf bank_mask:0xf// 00000000D3C4: 0A3838FA FF01588D
	v_mul_f32_dpp v29, v141, v29 row_newbcast:9 row_mask:0xf bank_mask:0xf// 00000000D3CC: 0A3A3AFA FF01598D
	v_mul_f32_dpp v30, v141, v30 row_newbcast:10 row_mask:0xf bank_mask:0xf// 00000000D3D4: 0A3C3CFA FF015A8D
	v_mul_f32_dpp v31, v141, v31 row_newbcast:11 row_mask:0xf bank_mask:0xf// 00000000D3DC: 0A3E3EFA FF015B8D
	v_pk_mul_f32 v[32:33], v[134:135], v[32:33]                // 00000000D3E4: D3B14020 18024186
	v_pk_mul_f32 v[34:35], v[134:135], v[34:35]                // 00000000D3EC: D3B14022 18024586
	v_mul_f32_dpp v32, v141, v32 row_newbcast:12 row_mask:0xf bank_mask:0xf// 00000000D3F4: 0A4040FA FF015C8D
	v_mul_f32_dpp v33, v141, v33 row_newbcast:13 row_mask:0xf bank_mask:0xf// 00000000D3FC: 0A4242FA FF015D8D
	v_mul_f32_dpp v34, v141, v34 row_newbcast:14 row_mask:0xf bank_mask:0xf// 00000000D404: 0A4444FA FF015E8D
	v_mul_f32_dpp v35, v141, v35 row_newbcast:15 row_mask:0xf bank_mask:0xf// 00000000D40C: 0A4646FA FF015F8D
	v_pk_mul_f32 v[36:37], v[136:137], v[36:37]                // 00000000D414: D3B14024 18024988
	v_pk_mul_f32 v[38:39], v[136:137], v[38:39]                // 00000000D41C: D3B14026 18024D88
	v_mul_f32_dpp v36, v141, v36 row_newbcast:0 row_mask:0xf bank_mask:0xf// 00000000D424: 0A4848FA FF01508D
	v_mul_f32_dpp v37, v141, v37 row_newbcast:1 row_mask:0xf bank_mask:0xf// 00000000D42C: 0A4A4AFA FF01518D
	v_mul_f32_dpp v38, v141, v38 row_newbcast:2 row_mask:0xf bank_mask:0xf// 00000000D434: 0A4C4CFA FF01528D
	v_mul_f32_dpp v39, v141, v39 row_newbcast:3 row_mask:0xf bank_mask:0xf// 00000000D43C: 0A4E4EFA FF01538D
	v_pk_mul_f32 v[40:41], v[136:137], v[40:41]                // 00000000D444: D3B14028 18025188
	v_pk_mul_f32 v[42:43], v[136:137], v[42:43]                // 00000000D44C: D3B1402A 18025588
	v_mul_f32_dpp v40, v141, v40 row_newbcast:4 row_mask:0xf bank_mask:0xf// 00000000D454: 0A5050FA FF01548D
	v_mul_f32_dpp v41, v141, v41 row_newbcast:5 row_mask:0xf bank_mask:0xf// 00000000D45C: 0A5252FA FF01558D
	v_mul_f32_dpp v42, v141, v42 row_newbcast:6 row_mask:0xf bank_mask:0xf// 00000000D464: 0A5454FA FF01568D
	v_mul_f32_dpp v43, v141, v43 row_newbcast:7 row_mask:0xf bank_mask:0xf// 00000000D46C: 0A5656FA FF01578D
	v_pk_mul_f32 v[44:45], v[136:137], v[44:45]                // 00000000D474: D3B1402C 18025988
	v_pk_mul_f32 v[46:47], v[136:137], v[46:47]                // 00000000D47C: D3B1402E 18025D88
	v_mul_f32_dpp v44, v141, v44 row_newbcast:8 row_mask:0xf bank_mask:0xf// 00000000D484: 0A5858FA FF01588D
	v_mul_f32_dpp v45, v141, v45 row_newbcast:9 row_mask:0xf bank_mask:0xf// 00000000D48C: 0A5A5AFA FF01598D
	v_mul_f32_dpp v46, v141, v46 row_newbcast:10 row_mask:0xf bank_mask:0xf// 00000000D494: 0A5C5CFA FF015A8D
	v_mul_f32_dpp v47, v141, v47 row_newbcast:11 row_mask:0xf bank_mask:0xf// 00000000D49C: 0A5E5EFA FF015B8D
	v_pk_mul_f32 v[48:49], v[136:137], v[48:49]                // 00000000D4A4: D3B14030 18026188
	v_pk_mul_f32 v[50:51], v[136:137], v[50:51]                // 00000000D4AC: D3B14032 18026588
	v_mul_f32_dpp v48, v141, v48 row_newbcast:12 row_mask:0xf bank_mask:0xf// 00000000D4B4: 0A6060FA FF015C8D
	v_mul_f32_dpp v49, v141, v49 row_newbcast:13 row_mask:0xf bank_mask:0xf// 00000000D4BC: 0A6262FA FF015D8D
	v_mul_f32_dpp v50, v141, v50 row_newbcast:14 row_mask:0xf bank_mask:0xf// 00000000D4C4: 0A6464FA FF015E8D
	v_mul_f32_dpp v51, v141, v51 row_newbcast:15 row_mask:0xf bank_mask:0xf// 00000000D4CC: 0A6666FA FF015F8D
	v_pk_mul_f32 v[52:53], v[138:139], v[52:53]                // 00000000D4D4: D3B14034 1802698A
	v_pk_mul_f32 v[54:55], v[138:139], v[54:55]                // 00000000D4DC: D3B14036 18026D8A
	v_mul_f32_dpp v52, v141, v52 row_newbcast:0 row_mask:0xf bank_mask:0xf// 00000000D4E4: 0A6868FA FF01508D
	v_mul_f32_dpp v53, v141, v53 row_newbcast:1 row_mask:0xf bank_mask:0xf// 00000000D4EC: 0A6A6AFA FF01518D
	v_mul_f32_dpp v54, v141, v54 row_newbcast:2 row_mask:0xf bank_mask:0xf// 00000000D4F4: 0A6C6CFA FF01528D
	v_mul_f32_dpp v55, v141, v55 row_newbcast:3 row_mask:0xf bank_mask:0xf// 00000000D4FC: 0A6E6EFA FF01538D
	v_pk_mul_f32 v[56:57], v[138:139], v[56:57]                // 00000000D504: D3B14038 1802718A
	v_pk_mul_f32 v[58:59], v[138:139], v[58:59]                // 00000000D50C: D3B1403A 1802758A
	v_mul_f32_dpp v56, v141, v56 row_newbcast:4 row_mask:0xf bank_mask:0xf// 00000000D514: 0A7070FA FF01548D
	v_mul_f32_dpp v57, v141, v57 row_newbcast:5 row_mask:0xf bank_mask:0xf// 00000000D51C: 0A7272FA FF01558D
	v_mul_f32_dpp v58, v141, v58 row_newbcast:6 row_mask:0xf bank_mask:0xf// 00000000D524: 0A7474FA FF01568D
	v_mul_f32_dpp v59, v141, v59 row_newbcast:7 row_mask:0xf bank_mask:0xf// 00000000D52C: 0A7676FA FF01578D
	v_pk_mul_f32 v[60:61], v[138:139], v[60:61]                // 00000000D534: D3B1403C 1802798A
	v_pk_mul_f32 v[62:63], v[138:139], v[62:63]                // 00000000D53C: D3B1403E 18027D8A
	v_mul_f32_dpp v60, v141, v60 row_newbcast:8 row_mask:0xf bank_mask:0xf// 00000000D544: 0A7878FA FF01588D
	v_mul_f32_dpp v61, v141, v61 row_newbcast:9 row_mask:0xf bank_mask:0xf// 00000000D54C: 0A7A7AFA FF01598D
	v_mul_f32_dpp v62, v141, v62 row_newbcast:10 row_mask:0xf bank_mask:0xf// 00000000D554: 0A7C7CFA FF015A8D
	v_mul_f32_dpp v63, v141, v63 row_newbcast:11 row_mask:0xf bank_mask:0xf// 00000000D55C: 0A7E7EFA FF015B8D
	v_pk_mul_f32 v[64:65], v[138:139], v[64:65]                // 00000000D564: D3B14040 1802818A
	v_pk_mul_f32 v[66:67], v[138:139], v[66:67]                // 00000000D56C: D3B14042 1802858A
	v_mul_f32_dpp v64, v141, v64 row_newbcast:12 row_mask:0xf bank_mask:0xf// 00000000D574: 0A8080FA FF015C8D
	v_mul_f32_dpp v65, v141, v65 row_newbcast:13 row_mask:0xf bank_mask:0xf// 00000000D57C: 0A8282FA FF015D8D
	v_mul_f32_dpp v66, v141, v66 row_newbcast:14 row_mask:0xf bank_mask:0xf// 00000000D584: 0A8484FA FF015E8D
	v_mul_f32_dpp v67, v141, v67 row_newbcast:15 row_mask:0xf bank_mask:0xf// 00000000D58C: 0A8686FA FF015F8D
	v_mov_b32_e32 v176, v4                                     // 00000000D594: 7F600304
	v_max3_f32 v176, v4, v5, v176                              // 00000000D598: D1D300B0 06C20B04
	v_max3_f32 v176, v6, v7, v176                              // 00000000D5A0: D1D300B0 06C20F06
	v_max3_f32 v176, v8, v9, v176                              // 00000000D5A8: D1D300B0 06C21308
	v_max3_f32 v176, v10, v11, v176                            // 00000000D5B0: D1D300B0 06C2170A
	v_max3_f32 v176, v12, v13, v176                            // 00000000D5B8: D1D300B0 06C21B0C
	v_max3_f32 v176, v14, v15, v176                            // 00000000D5C0: D1D300B0 06C21F0E
	v_max3_f32 v176, v16, v17, v176                            // 00000000D5C8: D1D300B0 06C22310
	v_max3_f32 v176, v18, v19, v176                            // 00000000D5D0: D1D300B0 06C22712
	v_mov_b32_e32 v177, v20                                    // 00000000D5D8: 7F620314
	v_max3_f32 v177, v20, v21, v177                            // 00000000D5DC: D1D300B1 06C62B14
	v_max3_f32 v177, v22, v23, v177                            // 00000000D5E4: D1D300B1 06C62F16
	v_max3_f32 v177, v24, v25, v177                            // 00000000D5EC: D1D300B1 06C63318
	v_max3_f32 v177, v26, v27, v177                            // 00000000D5F4: D1D300B1 06C6371A
	v_max3_f32 v177, v28, v29, v177                            // 00000000D5FC: D1D300B1 06C63B1C
	v_max3_f32 v177, v30, v31, v177                            // 00000000D604: D1D300B1 06C63F1E
	v_max3_f32 v177, v32, v33, v177                            // 00000000D60C: D1D300B1 06C64320
	v_max3_f32 v177, v34, v35, v177                            // 00000000D614: D1D300B1 06C64722
	v_mov_b32_e32 v178, v36                                    // 00000000D61C: 7F640324
	v_max3_f32 v178, v36, v37, v178                            // 00000000D620: D1D300B2 06CA4B24
	v_max3_f32 v178, v38, v39, v178                            // 00000000D628: D1D300B2 06CA4F26
	v_max3_f32 v178, v40, v41, v178                            // 00000000D630: D1D300B2 06CA5328
	v_max3_f32 v178, v42, v43, v178                            // 00000000D638: D1D300B2 06CA572A
	v_max3_f32 v178, v44, v45, v178                            // 00000000D640: D1D300B2 06CA5B2C
	v_max3_f32 v178, v46, v47, v178                            // 00000000D648: D1D300B2 06CA5F2E
	v_max3_f32 v178, v48, v49, v178                            // 00000000D650: D1D300B2 06CA6330
	v_max3_f32 v178, v50, v51, v178                            // 00000000D658: D1D300B2 06CA6732
	v_mov_b32_e32 v179, v52                                    // 00000000D660: 7F660334
	v_max3_f32 v179, v52, v53, v179                            // 00000000D664: D1D300B3 06CE6B34
	v_max3_f32 v179, v54, v55, v179                            // 00000000D66C: D1D300B3 06CE6F36
	v_max3_f32 v179, v56, v57, v179                            // 00000000D674: D1D300B3 06CE7338
	v_max3_f32 v179, v58, v59, v179                            // 00000000D67C: D1D300B3 06CE773A
	v_max3_f32 v179, v60, v61, v179                            // 00000000D684: D1D300B3 06CE7B3C
	v_max3_f32 v179, v62, v63, v179                            // 00000000D68C: D1D300B3 06CE7F3E
	v_max3_f32 v179, v64, v65, v179                            // 00000000D694: D1D300B3 06CE8340
	v_max3_f32 v179, v66, v67, v179                            // 00000000D69C: D1D300B3 06CE8742
	v_pk_mul_f32 v[100:101], v[160:161], v[100:101]            // 00000000D6A4: D3B14064 1802C9A0
	v_pk_mul_f32 v[102:103], v[160:161], v[102:103]            // 00000000D6AC: D3B14066 1802CDA0
	v_pk_mul_f32 v[104:105], v[160:161], v[104:105]            // 00000000D6B4: D3B14068 1802D1A0
	v_pk_mul_f32 v[106:107], v[160:161], v[106:107]            // 00000000D6BC: D3B1406A 1802D5A0
	v_pk_mul_f32 v[108:109], v[162:163], v[108:109]            // 00000000D6C4: D3B1406C 1802D9A2
	v_pk_mul_f32 v[110:111], v[162:163], v[110:111]            // 00000000D6CC: D3B1406E 1802DDA2
	v_pk_mul_f32 v[112:113], v[162:163], v[112:113]            // 00000000D6D4: D3B14070 1802E1A2
	v_pk_mul_f32 v[114:115], v[162:163], v[114:115]            // 00000000D6DC: D3B14072 1802E5A2
	v_pk_mul_f32 v[116:117], v[164:165], v[116:117]            // 00000000D6E4: D3B14074 1802E9A4
	v_pk_mul_f32 v[118:119], v[164:165], v[118:119]            // 00000000D6EC: D3B14076 1802EDA4
	v_pk_mul_f32 v[120:121], v[164:165], v[120:121]            // 00000000D6F4: D3B14078 1802F1A4
	v_pk_mul_f32 v[122:123], v[164:165], v[122:123]            // 00000000D6FC: D3B1407A 1802F5A4
	v_pk_mul_f32 v[124:125], v[166:167], v[124:125]            // 00000000D704: D3B1407C 1802F9A6
	v_pk_mul_f32 v[126:127], v[166:167], v[126:127]            // 00000000D70C: D3B1407E 1802FDA6
	v_pk_mul_f32 v[128:129], v[166:167], v[128:129]            // 00000000D714: D3B14080 180301A6
	v_pk_mul_f32 v[130:131], v[166:167], v[130:131]            // 00000000D71C: D3B14082 180305A6
	ds_bpermute_b32 v180, v200, v176                           // 00000000D724: D87E0000 B400B0C8
	ds_bpermute_b32 v181, v201, v176                           // 00000000D72C: D87E0000 B500B0C9
	ds_bpermute_b32 v182, v202, v176                           // 00000000D734: D87E0000 B600B0CA
	ds_bpermute_b32 v183, v200, v177                           // 00000000D73C: D87E0000 B700B1C8
	ds_bpermute_b32 v184, v201, v177                           // 00000000D744: D87E0000 B800B1C9
	ds_bpermute_b32 v185, v202, v177                           // 00000000D74C: D87E0000 B900B1CA
	ds_bpermute_b32 v186, v200, v178                           // 00000000D754: D87E0000 BA00B2C8
	ds_bpermute_b32 v187, v201, v178                           // 00000000D75C: D87E0000 BB00B2C9
	ds_bpermute_b32 v188, v202, v178                           // 00000000D764: D87E0000 BC00B2CA
	ds_bpermute_b32 v189, v200, v179                           // 00000000D76C: D87E0000 BD00B3C8
	ds_bpermute_b32 v190, v201, v179                           // 00000000D774: D87E0000 BE00B3C9
	ds_bpermute_b32 v191, v202, v179                           // 00000000D77C: D87E0000 BF00B3CA
	s_waitcnt lgkmcnt(9)                                       // 00000000D784: BF8CC97F
	v_max3_f32 v176, v180, v181, v176                          // 00000000D788: D1D300B0 06C36BB4
	v_max_f32_e32 v176, v182, v176                             // 00000000D790: 176161B6
	s_waitcnt lgkmcnt(6)                                       // 00000000D794: BF8CC67F
	v_max3_f32 v177, v183, v184, v177                          // 00000000D798: D1D300B1 06C771B7
	v_max_f32_e32 v177, v185, v177                             // 00000000D7A0: 176363B9
	s_waitcnt lgkmcnt(3)                                       // 00000000D7A4: BF8CC37F
	v_max3_f32 v178, v186, v187, v178                          // 00000000D7A8: D1D300B2 06CB77BA
	v_max_f32_e32 v178, v188, v178                             // 00000000D7B0: 176565BC
	s_waitcnt lgkmcnt(0)                                       // 00000000D7B4: BF8CC07F
	v_max3_f32 v179, v189, v190, v179                          // 00000000D7B8: D1D300B3 06CF7DBD
	v_max_f32_e32 v179, v191, v179                             // 00000000D7C0: 176767BF
	ds_write_b128 v247, v[176:179]                             // 00000000D7C4: D9BE0000 0000B0F7
	s_waitcnt lgkmcnt(0)                                       // 00000000D7CC: BF8CC07F
	s_barrier                                                  // 00000000D7D0: BF8A0000
	v_pk_mul_f32 v[68:69], v[144:145], v[68:69]                // 00000000D7D4: D3B14044 18028990
	v_pk_mul_f32 v[70:71], v[144:145], v[70:71]                // 00000000D7DC: D3B14046 18028D90
	v_pk_mul_f32 v[72:73], v[144:145], v[72:73]                // 00000000D7E4: D3B14048 18029190
	v_pk_mul_f32 v[74:75], v[144:145], v[74:75]                // 00000000D7EC: D3B1404A 18029590
	v_pk_mul_f32 v[76:77], v[146:147], v[76:77]                // 00000000D7F4: D3B1404C 18029992
	v_pk_mul_f32 v[78:79], v[146:147], v[78:79]                // 00000000D7FC: D3B1404E 18029D92
	v_pk_mul_f32 v[80:81], v[146:147], v[80:81]                // 00000000D804: D3B14050 1802A192
	v_pk_mul_f32 v[82:83], v[146:147], v[82:83]                // 00000000D80C: D3B14052 1802A592
	v_pk_mul_f32 v[84:85], v[148:149], v[84:85]                // 00000000D814: D3B14054 1802A994
	v_pk_mul_f32 v[86:87], v[148:149], v[86:87]                // 00000000D81C: D3B14056 1802AD94
	v_pk_mul_f32 v[88:89], v[148:149], v[88:89]                // 00000000D824: D3B14058 1802B194
	v_pk_mul_f32 v[90:91], v[148:149], v[90:91]                // 00000000D82C: D3B1405A 1802B594
	v_pk_mul_f32 v[92:93], v[150:151], v[92:93]                // 00000000D834: D3B1405C 1802B996
	v_pk_mul_f32 v[94:95], v[150:151], v[94:95]                // 00000000D83C: D3B1405E 1802BD96
	v_pk_mul_f32 v[96:97], v[150:151], v[96:97]                // 00000000D844: D3B14060 1802C196
	v_pk_mul_f32 v[98:99], v[150:151], v[98:99]                // 00000000D84C: D3B14062 1802C596
	ds_read_b128 v[180:183], v248                              // 00000000D854: D9FE0000 B40000F8
	ds_read_b128 v[184:187], v248 offset:256                   // 00000000D85C: D9FE0100 B80000F8
	ds_read_b128 v[188:191], v248 offset:512                   // 00000000D864: D9FE0200 BC0000F8
	ds_read_b128 v[192:195], v248 offset:768                   // 00000000D86C: D9FE0300 C00000F8
	s_waitcnt lgkmcnt(0)                                       // 00000000D874: BF8CC07F
	v_max3_f32 v176, v180, v184, v176                          // 00000000D878: D1D300B0 06C371B4
	v_max3_f32 v177, v181, v185, v177                          // 00000000D880: D1D300B1 06C773B5
	v_max3_f32 v178, v182, v186, v178                          // 00000000D888: D1D300B2 06CB75B6
	v_max3_f32 v179, v183, v187, v179                          // 00000000D890: D1D300B3 06CF77B7
	v_max3_f32 v176, v188, v192, v176                          // 00000000D898: D1D300B0 06C381BC
	v_max3_f32 v177, v189, v193, v177                          // 00000000D8A0: D1D300B1 06C783BD
	v_max3_f32 v178, v190, v194, v178                          // 00000000D8A8: D1D300B2 06CB85BE
	v_max3_f32 v179, v191, v195, v179                          // 00000000D8B0: D1D300B3 06CF87BF
	v_max_f32_e32 v156, v176, v152                             // 00000000D8B8: 173931B0
	v_mul_f32_e64 v196, -s46, v156                             // 00000000D8BC: D10500C4 2003382E
	v_mov_b32_e32 v197, v196                                   // 00000000D8C4: 7F8A03C4
	v_pk_fma_f32 v[4:5], v[4:5], s[46:47], v[196:197]          // 00000000D8C8: D3B04004 1F105D04
	v_pk_fma_f32 v[6:7], v[6:7], s[46:47], v[196:197]          // 00000000D8D0: D3B04006 1F105D06
	v_exp_f32_e32 v4, v4                                       // 00000000D8D8: 7E084104
	v_exp_f32_e32 v5, v5                                       // 00000000D8DC: 7E0A4105
	v_exp_f32_e32 v6, v6                                       // 00000000D8E0: 7E0C4106
	v_exp_f32_e32 v7, v7                                       // 00000000D8E4: 7E0E4107
	v_pk_fma_f32 v[8:9], v[8:9], s[46:47], v[196:197]          // 00000000D8E8: D3B04008 1F105D08
	v_pk_fma_f32 v[10:11], v[10:11], s[46:47], v[196:197]      // 00000000D8F0: D3B0400A 1F105D0A
	v_exp_f32_e32 v8, v8                                       // 00000000D8F8: 7E104108
	v_exp_f32_e32 v9, v9                                       // 00000000D8FC: 7E124109
	v_exp_f32_e32 v10, v10                                     // 00000000D900: 7E14410A
	v_exp_f32_e32 v11, v11                                     // 00000000D904: 7E16410B
	v_pk_fma_f32 v[12:13], v[12:13], s[46:47], v[196:197]      // 00000000D908: D3B0400C 1F105D0C
	v_pk_fma_f32 v[14:15], v[14:15], s[46:47], v[196:197]      // 00000000D910: D3B0400E 1F105D0E
	v_exp_f32_e32 v12, v12                                     // 00000000D918: 7E18410C
	v_exp_f32_e32 v13, v13                                     // 00000000D91C: 7E1A410D
	v_exp_f32_e32 v14, v14                                     // 00000000D920: 7E1C410E
	v_exp_f32_e32 v15, v15                                     // 00000000D924: 7E1E410F
	v_pk_fma_f32 v[16:17], v[16:17], s[46:47], v[196:197]      // 00000000D928: D3B04010 1F105D10
	v_pk_fma_f32 v[18:19], v[18:19], s[46:47], v[196:197]      // 00000000D930: D3B04012 1F105D12
	v_exp_f32_e32 v16, v16                                     // 00000000D938: 7E204110
	v_exp_f32_e32 v17, v17                                     // 00000000D93C: 7E224111
	v_exp_f32_e32 v18, v18                                     // 00000000D940: 7E244112
	v_exp_f32_e32 v19, v19                                     // 00000000D944: 7E264113
	v_max_f32_e32 v157, v177, v153                             // 00000000D948: 173B33B1
	v_mul_f32_e64 v196, -s46, v157                             // 00000000D94C: D10500C4 20033A2E
	v_mov_b32_e32 v197, v196                                   // 00000000D954: 7F8A03C4
	v_pk_fma_f32 v[20:21], v[20:21], s[46:47], v[196:197]      // 00000000D958: D3B04014 1F105D14
	v_pk_fma_f32 v[22:23], v[22:23], s[46:47], v[196:197]      // 00000000D960: D3B04016 1F105D16
	v_exp_f32_e32 v20, v20                                     // 00000000D968: 7E284114
	v_exp_f32_e32 v21, v21                                     // 00000000D96C: 7E2A4115
	v_exp_f32_e32 v22, v22                                     // 00000000D970: 7E2C4116
	v_exp_f32_e32 v23, v23                                     // 00000000D974: 7E2E4117
	v_pk_fma_f32 v[24:25], v[24:25], s[46:47], v[196:197]      // 00000000D978: D3B04018 1F105D18
	v_pk_fma_f32 v[26:27], v[26:27], s[46:47], v[196:197]      // 00000000D980: D3B0401A 1F105D1A
	v_exp_f32_e32 v24, v24                                     // 00000000D988: 7E304118
	v_exp_f32_e32 v25, v25                                     // 00000000D98C: 7E324119
	v_exp_f32_e32 v26, v26                                     // 00000000D990: 7E34411A
	v_exp_f32_e32 v27, v27                                     // 00000000D994: 7E36411B
	v_pk_fma_f32 v[28:29], v[28:29], s[46:47], v[196:197]      // 00000000D998: D3B0401C 1F105D1C
	v_pk_fma_f32 v[30:31], v[30:31], s[46:47], v[196:197]      // 00000000D9A0: D3B0401E 1F105D1E
	v_exp_f32_e32 v28, v28                                     // 00000000D9A8: 7E38411C
	v_exp_f32_e32 v29, v29                                     // 00000000D9AC: 7E3A411D
	v_exp_f32_e32 v30, v30                                     // 00000000D9B0: 7E3C411E
	v_exp_f32_e32 v31, v31                                     // 00000000D9B4: 7E3E411F
	v_pk_fma_f32 v[32:33], v[32:33], s[46:47], v[196:197]      // 00000000D9B8: D3B04020 1F105D20
	v_pk_fma_f32 v[34:35], v[34:35], s[46:47], v[196:197]      // 00000000D9C0: D3B04022 1F105D22
	v_exp_f32_e32 v32, v32                                     // 00000000D9C8: 7E404120
	v_exp_f32_e32 v33, v33                                     // 00000000D9CC: 7E424121
	v_exp_f32_e32 v34, v34                                     // 00000000D9D0: 7E444122
	v_exp_f32_e32 v35, v35                                     // 00000000D9D4: 7E464123
	v_max_f32_e32 v158, v178, v154                             // 00000000D9D8: 173D35B2
	v_mul_f32_e64 v196, -s46, v158                             // 00000000D9DC: D10500C4 20033C2E
	v_mov_b32_e32 v197, v196                                   // 00000000D9E4: 7F8A03C4
	v_pk_fma_f32 v[36:37], v[36:37], s[46:47], v[196:197]      // 00000000D9E8: D3B04024 1F105D24
	v_pk_fma_f32 v[38:39], v[38:39], s[46:47], v[196:197]      // 00000000D9F0: D3B04026 1F105D26
	v_exp_f32_e32 v36, v36                                     // 00000000D9F8: 7E484124
	v_exp_f32_e32 v37, v37                                     // 00000000D9FC: 7E4A4125
	v_exp_f32_e32 v38, v38                                     // 00000000DA00: 7E4C4126
	v_exp_f32_e32 v39, v39                                     // 00000000DA04: 7E4E4127
	v_pk_fma_f32 v[40:41], v[40:41], s[46:47], v[196:197]      // 00000000DA08: D3B04028 1F105D28
	v_pk_fma_f32 v[42:43], v[42:43], s[46:47], v[196:197]      // 00000000DA10: D3B0402A 1F105D2A
	v_exp_f32_e32 v40, v40                                     // 00000000DA18: 7E504128
	v_exp_f32_e32 v41, v41                                     // 00000000DA1C: 7E524129
	v_exp_f32_e32 v42, v42                                     // 00000000DA20: 7E54412A
	v_exp_f32_e32 v43, v43                                     // 00000000DA24: 7E56412B
	v_pk_fma_f32 v[44:45], v[44:45], s[46:47], v[196:197]      // 00000000DA28: D3B0402C 1F105D2C
	v_pk_fma_f32 v[46:47], v[46:47], s[46:47], v[196:197]      // 00000000DA30: D3B0402E 1F105D2E
	v_exp_f32_e32 v44, v44                                     // 00000000DA38: 7E58412C
	v_exp_f32_e32 v45, v45                                     // 00000000DA3C: 7E5A412D
	v_exp_f32_e32 v46, v46                                     // 00000000DA40: 7E5C412E
	v_exp_f32_e32 v47, v47                                     // 00000000DA44: 7E5E412F
	v_pk_fma_f32 v[48:49], v[48:49], s[46:47], v[196:197]      // 00000000DA48: D3B04030 1F105D30
	v_pk_fma_f32 v[50:51], v[50:51], s[46:47], v[196:197]      // 00000000DA50: D3B04032 1F105D32
	v_exp_f32_e32 v48, v48                                     // 00000000DA58: 7E604130
	v_exp_f32_e32 v49, v49                                     // 00000000DA5C: 7E624131
	v_exp_f32_e32 v50, v50                                     // 00000000DA60: 7E644132
	v_exp_f32_e32 v51, v51                                     // 00000000DA64: 7E664133
	v_max_f32_e32 v159, v179, v155                             // 00000000DA68: 173F37B3
	v_mul_f32_e64 v196, -s46, v159                             // 00000000DA6C: D10500C4 20033E2E
	v_mov_b32_e32 v197, v196                                   // 00000000DA74: 7F8A03C4
	v_pk_fma_f32 v[52:53], v[52:53], s[46:47], v[196:197]      // 00000000DA78: D3B04034 1F105D34
	v_pk_fma_f32 v[54:55], v[54:55], s[46:47], v[196:197]      // 00000000DA80: D3B04036 1F105D36
	v_exp_f32_e32 v52, v52                                     // 00000000DA88: 7E684134
	v_exp_f32_e32 v53, v53                                     // 00000000DA8C: 7E6A4135
	v_exp_f32_e32 v54, v54                                     // 00000000DA90: 7E6C4136
	v_exp_f32_e32 v55, v55                                     // 00000000DA94: 7E6E4137
	v_pk_fma_f32 v[56:57], v[56:57], s[46:47], v[196:197]      // 00000000DA98: D3B04038 1F105D38
	v_pk_fma_f32 v[58:59], v[58:59], s[46:47], v[196:197]      // 00000000DAA0: D3B0403A 1F105D3A
	v_exp_f32_e32 v56, v56                                     // 00000000DAA8: 7E704138
	v_exp_f32_e32 v57, v57                                     // 00000000DAAC: 7E724139
	v_exp_f32_e32 v58, v58                                     // 00000000DAB0: 7E74413A
	v_exp_f32_e32 v59, v59                                     // 00000000DAB4: 7E76413B
	v_pk_fma_f32 v[60:61], v[60:61], s[46:47], v[196:197]      // 00000000DAB8: D3B0403C 1F105D3C
	v_pk_fma_f32 v[62:63], v[62:63], s[46:47], v[196:197]      // 00000000DAC0: D3B0403E 1F105D3E
	v_exp_f32_e32 v60, v60                                     // 00000000DAC8: 7E78413C
	v_exp_f32_e32 v61, v61                                     // 00000000DACC: 7E7A413D
	v_exp_f32_e32 v62, v62                                     // 00000000DAD0: 7E7C413E
	v_exp_f32_e32 v63, v63                                     // 00000000DAD4: 7E7E413F
	v_pk_fma_f32 v[64:65], v[64:65], s[46:47], v[196:197]      // 00000000DAD8: D3B04040 1F105D40
	v_pk_fma_f32 v[66:67], v[66:67], s[46:47], v[196:197]      // 00000000DAE0: D3B04042 1F105D42
	v_exp_f32_e32 v64, v64                                     // 00000000DAE8: 7E804140
	v_exp_f32_e32 v65, v65                                     // 00000000DAEC: 7E824141
	v_exp_f32_e32 v66, v66                                     // 00000000DAF0: 7E844142
	v_exp_f32_e32 v67, v67                                     // 00000000DAF4: 7E864143
	v_sub_f32_e32 v160, v152, v156                             // 00000000DAF8: 05413998
	v_cmp_eq_u32_e64 s[98:99], v216, v152                      // 00000000DAFC: D0CA0062 000331D8
	v_cndmask_b32_e64 v160, v160, 0, s[98:99]                  // 00000000DB04: D10000A0 018901A0
	v_mov_b32_e32 v152, v156                                   // 00000000DB0C: 7F30039C
	v_mul_f32_e32 v160, s46, v160                              // 00000000DB10: 0B41402E
	v_exp_f32_e32 v160, v160                                   // 00000000DB14: 7F4041A0
	v_sub_f32_e32 v162, v153, v157                             // 00000000DB18: 05453B99
	v_cmp_eq_u32_e64 s[98:99], v216, v153                      // 00000000DB1C: D0CA0062 000333D8
	v_cndmask_b32_e64 v162, v162, 0, s[98:99]                  // 00000000DB24: D10000A2 018901A2
	v_mov_b32_e32 v153, v157                                   // 00000000DB2C: 7F32039D
	v_mul_f32_e32 v162, s46, v162                              // 00000000DB30: 0B45442E
	v_exp_f32_e32 v162, v162                                   // 00000000DB34: 7F4441A2
	v_sub_f32_e32 v164, v154, v158                             // 00000000DB38: 05493D9A
	v_cmp_eq_u32_e64 s[98:99], v216, v154                      // 00000000DB3C: D0CA0062 000335D8
	v_cndmask_b32_e64 v164, v164, 0, s[98:99]                  // 00000000DB44: D10000A4 018901A4
	v_mov_b32_e32 v154, v158                                   // 00000000DB4C: 7F34039E
	v_mul_f32_e32 v164, s46, v164                              // 00000000DB50: 0B49482E
	v_exp_f32_e32 v164, v164                                   // 00000000DB54: 7F4841A4
	v_sub_f32_e32 v166, v155, v159                             // 00000000DB58: 054D3F9B
	v_cmp_eq_u32_e64 s[98:99], v216, v155                      // 00000000DB5C: D0CA0062 000337D8
	v_cndmask_b32_e64 v166, v166, 0, s[98:99]                  // 00000000DB64: D10000A6 018901A6
	v_mov_b32_e32 v155, v159                                   // 00000000DB6C: 7F36039F
	v_mul_f32_e32 v166, s46, v166                              // 00000000DB70: 0B4D4C2E
	v_exp_f32_e32 v166, v166                                   // 00000000DB74: 7F4C41A6
	v_mov_b32_e32 v161, v160                                   // 00000000DB78: 7F4203A0
	v_mov_b32_e32 v163, v162                                   // 00000000DB7C: 7F4603A2
	v_mov_b32_e32 v165, v164                                   // 00000000DB80: 7F4A03A4
	v_mov_b32_e32 v167, v166                                   // 00000000DB84: 7F4E03A6
	v_mul_f32_e32 v168, v160, v168                             // 00000000DB88: 0B5151A0
	v_mov_b32_e32 v169, 0                                      // 00000000DB8C: 7F520280
	v_pk_add_f32 v[168:169], v[4:5], v[168:169]                // 00000000DB90: D3B240A8 18035104
	v_pk_add_f32 v[168:169], v[6:7], v[168:169]                // 00000000DB98: D3B240A8 18035106
	v_pk_add_f32 v[168:169], v[8:9], v[168:169]                // 00000000DBA0: D3B240A8 18035108
	v_pk_add_f32 v[168:169], v[10:11], v[168:169]              // 00000000DBA8: D3B240A8 1803510A
	v_pk_add_f32 v[168:169], v[12:13], v[168:169]              // 00000000DBB0: D3B240A8 1803510C
	v_pk_add_f32 v[168:169], v[14:15], v[168:169]              // 00000000DBB8: D3B240A8 1803510E
	v_pk_add_f32 v[168:169], v[16:17], v[168:169]              // 00000000DBC0: D3B240A8 18035110
	v_pk_add_f32 v[168:169], v[18:19], v[168:169]              // 00000000DBC8: D3B240A8 18035112
	v_add_f32_e32 v168, v169, v168                             // 00000000DBD0: 035151A9
	v_mul_f32_e32 v170, v162, v170                             // 00000000DBD4: 0B5555A2
	v_mov_b32_e32 v171, 0                                      // 00000000DBD8: 7F560280
	v_pk_add_f32 v[170:171], v[20:21], v[170:171]              // 00000000DBDC: D3B240AA 18035514
	v_pk_add_f32 v[170:171], v[22:23], v[170:171]              // 00000000DBE4: D3B240AA 18035516
	v_pk_add_f32 v[170:171], v[24:25], v[170:171]              // 00000000DBEC: D3B240AA 18035518
	v_pk_add_f32 v[170:171], v[26:27], v[170:171]              // 00000000DBF4: D3B240AA 1803551A
	v_pk_add_f32 v[170:171], v[28:29], v[170:171]              // 00000000DBFC: D3B240AA 1803551C
	v_pk_add_f32 v[170:171], v[30:31], v[170:171]              // 00000000DC04: D3B240AA 1803551E
	v_pk_add_f32 v[170:171], v[32:33], v[170:171]              // 00000000DC0C: D3B240AA 18035520
	v_pk_add_f32 v[170:171], v[34:35], v[170:171]              // 00000000DC14: D3B240AA 18035522
	v_add_f32_e32 v170, v171, v170                             // 00000000DC1C: 035555AB
	v_mul_f32_e32 v172, v164, v172                             // 00000000DC20: 0B5959A4
	v_mov_b32_e32 v173, 0                                      // 00000000DC24: 7F5A0280
	v_pk_add_f32 v[172:173], v[36:37], v[172:173]              // 00000000DC28: D3B240AC 18035924
	v_pk_add_f32 v[172:173], v[38:39], v[172:173]              // 00000000DC30: D3B240AC 18035926
	v_pk_add_f32 v[172:173], v[40:41], v[172:173]              // 00000000DC38: D3B240AC 18035928
	v_pk_add_f32 v[172:173], v[42:43], v[172:173]              // 00000000DC40: D3B240AC 1803592A
	v_pk_add_f32 v[172:173], v[44:45], v[172:173]              // 00000000DC48: D3B240AC 1803592C
	v_pk_add_f32 v[172:173], v[46:47], v[172:173]              // 00000000DC50: D3B240AC 1803592E
	v_pk_add_f32 v[172:173], v[48:49], v[172:173]              // 00000000DC58: D3B240AC 18035930
	v_pk_add_f32 v[172:173], v[50:51], v[172:173]              // 00000000DC60: D3B240AC 18035932
	v_add_f32_e32 v172, v173, v172                             // 00000000DC68: 035959AD
	v_mul_f32_e32 v174, v166, v174                             // 00000000DC6C: 0B5D5DA6
	v_mov_b32_e32 v175, 0                                      // 00000000DC70: 7F5E0280
	v_pk_add_f32 v[174:175], v[52:53], v[174:175]              // 00000000DC74: D3B240AE 18035D34
	v_pk_add_f32 v[174:175], v[54:55], v[174:175]              // 00000000DC7C: D3B240AE 18035D36
	v_pk_add_f32 v[174:175], v[56:57], v[174:175]              // 00000000DC84: D3B240AE 18035D38
	v_pk_add_f32 v[174:175], v[58:59], v[174:175]              // 00000000DC8C: D3B240AE 18035D3A
	v_pk_add_f32 v[174:175], v[60:61], v[174:175]              // 00000000DC94: D3B240AE 18035D3C
	v_pk_add_f32 v[174:175], v[62:63], v[174:175]              // 00000000DC9C: D3B240AE 18035D3E
	v_pk_add_f32 v[174:175], v[64:65], v[174:175]              // 00000000DCA4: D3B240AE 18035D40
	v_pk_add_f32 v[174:175], v[66:67], v[174:175]              // 00000000DCAC: D3B240AE 18035D42
	v_add_f32_e32 v174, v175, v174                             // 00000000DCB4: 035D5DAF
	v_mul_f32_dpp v4, v143, v4 row_newbcast:0 row_mask:0xf bank_mask:0xf// 00000000DCB8: 0A0808FA FF01508F
	v_mul_f32_dpp v5, v143, v5 row_newbcast:1 row_mask:0xf bank_mask:0xf// 00000000DCC0: 0A0A0AFA FF01518F
	v_mul_f32_dpp v6, v143, v6 row_newbcast:2 row_mask:0xf bank_mask:0xf// 00000000DCC8: 0A0C0CFA FF01528F
	v_mul_f32_dpp v7, v143, v7 row_newbcast:3 row_mask:0xf bank_mask:0xf// 00000000DCD0: 0A0E0EFA FF01538F
	v_mul_f32_dpp v8, v143, v8 row_newbcast:4 row_mask:0xf bank_mask:0xf// 00000000DCD8: 0A1010FA FF01548F
	v_mul_f32_dpp v9, v143, v9 row_newbcast:5 row_mask:0xf bank_mask:0xf// 00000000DCE0: 0A1212FA FF01558F
	v_mul_f32_dpp v10, v143, v10 row_newbcast:6 row_mask:0xf bank_mask:0xf// 00000000DCE8: 0A1414FA FF01568F
	v_mul_f32_dpp v11, v143, v11 row_newbcast:7 row_mask:0xf bank_mask:0xf// 00000000DCF0: 0A1616FA FF01578F
	v_mul_f32_dpp v12, v143, v12 row_newbcast:8 row_mask:0xf bank_mask:0xf// 00000000DCF8: 0A1818FA FF01588F
	v_mul_f32_dpp v13, v143, v13 row_newbcast:9 row_mask:0xf bank_mask:0xf// 00000000DD00: 0A1A1AFA FF01598F
	v_mul_f32_dpp v14, v143, v14 row_newbcast:10 row_mask:0xf bank_mask:0xf// 00000000DD08: 0A1C1CFA FF015A8F
	v_mul_f32_dpp v15, v143, v15 row_newbcast:11 row_mask:0xf bank_mask:0xf// 00000000DD10: 0A1E1EFA FF015B8F
	v_mul_f32_dpp v16, v143, v16 row_newbcast:12 row_mask:0xf bank_mask:0xf// 00000000DD18: 0A2020FA FF015C8F
	v_mul_f32_dpp v17, v143, v17 row_newbcast:13 row_mask:0xf bank_mask:0xf// 00000000DD20: 0A2222FA FF015D8F
	v_mul_f32_dpp v18, v143, v18 row_newbcast:14 row_mask:0xf bank_mask:0xf// 00000000DD28: 0A2424FA FF015E8F
	v_mul_f32_dpp v19, v143, v19 row_newbcast:15 row_mask:0xf bank_mask:0xf// 00000000DD30: 0A2626FA FF015F8F
	v_mul_f32_dpp v20, v143, v20 row_newbcast:0 row_mask:0xf bank_mask:0xf// 00000000DD38: 0A2828FA FF01508F
	v_mul_f32_dpp v21, v143, v21 row_newbcast:1 row_mask:0xf bank_mask:0xf// 00000000DD40: 0A2A2AFA FF01518F
	v_mul_f32_dpp v22, v143, v22 row_newbcast:2 row_mask:0xf bank_mask:0xf// 00000000DD48: 0A2C2CFA FF01528F
	v_mul_f32_dpp v23, v143, v23 row_newbcast:3 row_mask:0xf bank_mask:0xf// 00000000DD50: 0A2E2EFA FF01538F
	v_mul_f32_dpp v24, v143, v24 row_newbcast:4 row_mask:0xf bank_mask:0xf// 00000000DD58: 0A3030FA FF01548F
	v_mul_f32_dpp v25, v143, v25 row_newbcast:5 row_mask:0xf bank_mask:0xf// 00000000DD60: 0A3232FA FF01558F
	v_mul_f32_dpp v26, v143, v26 row_newbcast:6 row_mask:0xf bank_mask:0xf// 00000000DD68: 0A3434FA FF01568F
	v_mul_f32_dpp v27, v143, v27 row_newbcast:7 row_mask:0xf bank_mask:0xf// 00000000DD70: 0A3636FA FF01578F
	v_mul_f32_dpp v28, v143, v28 row_newbcast:8 row_mask:0xf bank_mask:0xf// 00000000DD78: 0A3838FA FF01588F
	v_mul_f32_dpp v29, v143, v29 row_newbcast:9 row_mask:0xf bank_mask:0xf// 00000000DD80: 0A3A3AFA FF01598F
	v_mul_f32_dpp v30, v143, v30 row_newbcast:10 row_mask:0xf bank_mask:0xf// 00000000DD88: 0A3C3CFA FF015A8F
	v_mul_f32_dpp v31, v143, v31 row_newbcast:11 row_mask:0xf bank_mask:0xf// 00000000DD90: 0A3E3EFA FF015B8F
	v_mul_f32_dpp v32, v143, v32 row_newbcast:12 row_mask:0xf bank_mask:0xf// 00000000DD98: 0A4040FA FF015C8F
	v_mul_f32_dpp v33, v143, v33 row_newbcast:13 row_mask:0xf bank_mask:0xf// 00000000DDA0: 0A4242FA FF015D8F
	v_mul_f32_dpp v34, v143, v34 row_newbcast:14 row_mask:0xf bank_mask:0xf// 00000000DDA8: 0A4444FA FF015E8F
	v_mul_f32_dpp v35, v143, v35 row_newbcast:15 row_mask:0xf bank_mask:0xf// 00000000DDB0: 0A4646FA FF015F8F
	v_mul_f32_dpp v36, v143, v36 row_newbcast:0 row_mask:0xf bank_mask:0xf// 00000000DDB8: 0A4848FA FF01508F
	v_mul_f32_dpp v37, v143, v37 row_newbcast:1 row_mask:0xf bank_mask:0xf// 00000000DDC0: 0A4A4AFA FF01518F
	v_mul_f32_dpp v38, v143, v38 row_newbcast:2 row_mask:0xf bank_mask:0xf// 00000000DDC8: 0A4C4CFA FF01528F
	v_mul_f32_dpp v39, v143, v39 row_newbcast:3 row_mask:0xf bank_mask:0xf// 00000000DDD0: 0A4E4EFA FF01538F
	v_mul_f32_dpp v40, v143, v40 row_newbcast:4 row_mask:0xf bank_mask:0xf// 00000000DDD8: 0A5050FA FF01548F
	v_mul_f32_dpp v41, v143, v41 row_newbcast:5 row_mask:0xf bank_mask:0xf// 00000000DDE0: 0A5252FA FF01558F
	v_mul_f32_dpp v42, v143, v42 row_newbcast:6 row_mask:0xf bank_mask:0xf// 00000000DDE8: 0A5454FA FF01568F
	v_mul_f32_dpp v43, v143, v43 row_newbcast:7 row_mask:0xf bank_mask:0xf// 00000000DDF0: 0A5656FA FF01578F
	v_mul_f32_dpp v44, v143, v44 row_newbcast:8 row_mask:0xf bank_mask:0xf// 00000000DDF8: 0A5858FA FF01588F
	v_mul_f32_dpp v45, v143, v45 row_newbcast:9 row_mask:0xf bank_mask:0xf// 00000000DE00: 0A5A5AFA FF01598F
	v_mul_f32_dpp v46, v143, v46 row_newbcast:10 row_mask:0xf bank_mask:0xf// 00000000DE08: 0A5C5CFA FF015A8F
	v_mul_f32_dpp v47, v143, v47 row_newbcast:11 row_mask:0xf bank_mask:0xf// 00000000DE10: 0A5E5EFA FF015B8F
	v_mul_f32_dpp v48, v143, v48 row_newbcast:12 row_mask:0xf bank_mask:0xf// 00000000DE18: 0A6060FA FF015C8F
	v_mul_f32_dpp v49, v143, v49 row_newbcast:13 row_mask:0xf bank_mask:0xf// 00000000DE20: 0A6262FA FF015D8F
	v_mul_f32_dpp v50, v143, v50 row_newbcast:14 row_mask:0xf bank_mask:0xf// 00000000DE28: 0A6464FA FF015E8F
	v_mul_f32_dpp v51, v143, v51 row_newbcast:15 row_mask:0xf bank_mask:0xf// 00000000DE30: 0A6666FA FF015F8F
	v_mul_f32_dpp v52, v143, v52 row_newbcast:0 row_mask:0xf bank_mask:0xf// 00000000DE38: 0A6868FA FF01508F
	v_mul_f32_dpp v53, v143, v53 row_newbcast:1 row_mask:0xf bank_mask:0xf// 00000000DE40: 0A6A6AFA FF01518F
	v_mul_f32_dpp v54, v143, v54 row_newbcast:2 row_mask:0xf bank_mask:0xf// 00000000DE48: 0A6C6CFA FF01528F
	v_mul_f32_dpp v55, v143, v55 row_newbcast:3 row_mask:0xf bank_mask:0xf// 00000000DE50: 0A6E6EFA FF01538F
	v_mul_f32_dpp v56, v143, v56 row_newbcast:4 row_mask:0xf bank_mask:0xf// 00000000DE58: 0A7070FA FF01548F
	v_mul_f32_dpp v57, v143, v57 row_newbcast:5 row_mask:0xf bank_mask:0xf// 00000000DE60: 0A7272FA FF01558F
	v_mul_f32_dpp v58, v143, v58 row_newbcast:6 row_mask:0xf bank_mask:0xf// 00000000DE68: 0A7474FA FF01568F
	v_mul_f32_dpp v59, v143, v59 row_newbcast:7 row_mask:0xf bank_mask:0xf// 00000000DE70: 0A7676FA FF01578F
	v_mul_f32_dpp v60, v143, v60 row_newbcast:8 row_mask:0xf bank_mask:0xf// 00000000DE78: 0A7878FA FF01588F
	v_mul_f32_dpp v61, v143, v61 row_newbcast:9 row_mask:0xf bank_mask:0xf// 00000000DE80: 0A7A7AFA FF01598F
	v_mul_f32_dpp v62, v143, v62 row_newbcast:10 row_mask:0xf bank_mask:0xf// 00000000DE88: 0A7C7CFA FF015A8F
	v_mul_f32_dpp v63, v143, v63 row_newbcast:11 row_mask:0xf bank_mask:0xf// 00000000DE90: 0A7E7EFA FF015B8F
	v_mul_f32_dpp v64, v143, v64 row_newbcast:12 row_mask:0xf bank_mask:0xf// 00000000DE98: 0A8080FA FF015C8F
	v_mul_f32_dpp v65, v143, v65 row_newbcast:13 row_mask:0xf bank_mask:0xf// 00000000DEA0: 0A8282FA FF015D8F
	v_mul_f32_dpp v66, v143, v66 row_newbcast:14 row_mask:0xf bank_mask:0xf// 00000000DEA8: 0A8484FA FF015E8F
	v_mul_f32_dpp v67, v143, v67 row_newbcast:15 row_mask:0xf bank_mask:0xf// 00000000DEB0: 0A8686FA FF015F8F
	buffer_load_dword v140, v231, s[20:23], 0 offen            // 00000000DEB8: E0501000 80058CE7
	s_waitcnt lgkmcnt(0)                                       // 00000000DEC0: BF8CC07F
	s_barrier                                                  // 00000000DEC4: BF8A0000
	buffer_load_dword v142, v232, s[24:27], 0 offen            // 00000000DEC8: E0501000 80068EE8
	s_waitcnt lgkmcnt(0)                                       // 00000000DED0: BF8CC07F
	v_sub_f32_e32 v176, v176, v152                             // 00000000DED4: 056131B0
	v_sub_f32_e32 v177, v177, v153                             // 00000000DED8: 056333B1
	v_sub_f32_e32 v178, v178, v154                             // 00000000DEDC: 056535B2
	v_sub_f32_e32 v179, v179, v155                             // 00000000DEE0: 056737B3
	v_mul_f32_e32 v176, s46, v176                              // 00000000DEE4: 0B61602E
	v_mul_f32_e32 v177, s46, v177                              // 00000000DEE8: 0B63622E
	v_mul_f32_e32 v178, s46, v178                              // 00000000DEEC: 0B65642E
	v_mul_f32_e32 v179, s46, v179                              // 00000000DEF0: 0B67662E
	v_exp_f32_e32 v176, v176                                   // 00000000DEF4: 7F6041B0
	v_exp_f32_e32 v177, v177                                   // 00000000DEF8: 7F6241B1
	v_exp_f32_e32 v178, v178                                   // 00000000DEFC: 7F6441B2
	v_exp_f32_e32 v179, v179                                   // 00000000DF00: 7F6641B3
	v_mul_f32_e32 v176, v143, v176                             // 00000000DF04: 0B61618F
	v_mul_f32_e32 v177, v143, v177                             // 00000000DF08: 0B63638F
	v_mul_f32_e32 v178, v143, v178                             // 00000000DF0C: 0B65658F
	v_mul_f32_e32 v179, v143, v179                             // 00000000DF10: 0B67678F
	v_add_f32_e32 v176, 0x3089705f, v176                       // 00000000DF14: 036160FF 3089705F
	v_add_f32_e32 v177, 0x3089705f, v177                       // 00000000DF1C: 036362FF 3089705F
	v_add_f32_e32 v178, 0x3089705f, v178                       // 00000000DF24: 036564FF 3089705F
	v_add_f32_e32 v179, 0x3089705f, v179                       // 00000000DF2C: 036766FF 3089705F
	v_rcp_f32_e32 v176, v176                                   // 00000000DF34: 7F6045B0
	v_rcp_f32_e32 v177, v177                                   // 00000000DF38: 7F6245B1
	v_rcp_f32_e32 v178, v178                                   // 00000000DF3C: 7F6445B2
	v_rcp_f32_e32 v179, v179                                   // 00000000DF40: 7F6645B3
	v_mul_f32_e32 v176, 0x43700000, v176                       // 00000000DF44: 0B6160FF 43700000
	v_mul_f32_e32 v177, 0x43700000, v177                       // 00000000DF4C: 0B6362FF 43700000
	v_mul_f32_e32 v178, 0x43700000, v178                       // 00000000DF54: 0B6564FF 43700000
	v_mul_f32_e32 v179, 0x43700000, v179                       // 00000000DF5C: 0B6766FF 43700000
	v_mul_f32_e32 v4, v176, v4                                 // 00000000DF64: 0A0809B0
	v_mul_f32_e32 v5, v176, v5                                 // 00000000DF68: 0A0A0BB0
	v_mul_f32_e32 v6, v176, v6                                 // 00000000DF6C: 0A0C0DB0
	v_mul_f32_e32 v7, v176, v7                                 // 00000000DF70: 0A0E0FB0
	v_mul_f32_e32 v8, v176, v8                                 // 00000000DF74: 0A1011B0
	v_mul_f32_e32 v9, v176, v9                                 // 00000000DF78: 0A1213B0
	v_mul_f32_e32 v10, v176, v10                               // 00000000DF7C: 0A1415B0
	v_mul_f32_e32 v11, v176, v11                               // 00000000DF80: 0A1617B0
	v_mul_f32_e32 v12, v176, v12                               // 00000000DF84: 0A1819B0
	v_mul_f32_e32 v13, v176, v13                               // 00000000DF88: 0A1A1BB0
	v_mul_f32_e32 v14, v176, v14                               // 00000000DF8C: 0A1C1DB0
	v_mul_f32_e32 v15, v176, v15                               // 00000000DF90: 0A1E1FB0
	v_mul_f32_e32 v16, v176, v16                               // 00000000DF94: 0A2021B0
	v_mul_f32_e32 v17, v176, v17                               // 00000000DF98: 0A2223B0
	v_mul_f32_e32 v18, v176, v18                               // 00000000DF9C: 0A2425B0
	v_mul_f32_e32 v19, v176, v19                               // 00000000DFA0: 0A2627B0
	v_mul_f32_e32 v20, v177, v20                               // 00000000DFA4: 0A2829B1
	v_mul_f32_e32 v21, v177, v21                               // 00000000DFA8: 0A2A2BB1
	v_mul_f32_e32 v22, v177, v22                               // 00000000DFAC: 0A2C2DB1
	v_mul_f32_e32 v23, v177, v23                               // 00000000DFB0: 0A2E2FB1
	v_mul_f32_e32 v24, v177, v24                               // 00000000DFB4: 0A3031B1
	v_mul_f32_e32 v25, v177, v25                               // 00000000DFB8: 0A3233B1
	v_mul_f32_e32 v26, v177, v26                               // 00000000DFBC: 0A3435B1
	v_mul_f32_e32 v27, v177, v27                               // 00000000DFC0: 0A3637B1
	v_mul_f32_e32 v28, v177, v28                               // 00000000DFC4: 0A3839B1
	v_mul_f32_e32 v29, v177, v29                               // 00000000DFC8: 0A3A3BB1
	v_mul_f32_e32 v30, v177, v30                               // 00000000DFCC: 0A3C3DB1
	v_mul_f32_e32 v31, v177, v31                               // 00000000DFD0: 0A3E3FB1
	v_mul_f32_e32 v32, v177, v32                               // 00000000DFD4: 0A4041B1
	v_mul_f32_e32 v33, v177, v33                               // 00000000DFD8: 0A4243B1
	v_mul_f32_e32 v34, v177, v34                               // 00000000DFDC: 0A4445B1
	v_mul_f32_e32 v35, v177, v35                               // 00000000DFE0: 0A4647B1
	v_mul_f32_e32 v36, v178, v36                               // 00000000DFE4: 0A4849B2
	v_mul_f32_e32 v37, v178, v37                               // 00000000DFE8: 0A4A4BB2
	v_mul_f32_e32 v38, v178, v38                               // 00000000DFEC: 0A4C4DB2
	v_mul_f32_e32 v39, v178, v39                               // 00000000DFF0: 0A4E4FB2
	v_mul_f32_e32 v40, v178, v40                               // 00000000DFF4: 0A5051B2
	v_mul_f32_e32 v41, v178, v41                               // 00000000DFF8: 0A5253B2
	v_mul_f32_e32 v42, v178, v42                               // 00000000DFFC: 0A5455B2
	v_mul_f32_e32 v43, v178, v43                               // 00000000E000: 0A5657B2
	v_mul_f32_e32 v44, v178, v44                               // 00000000E004: 0A5859B2
	v_mul_f32_e32 v45, v178, v45                               // 00000000E008: 0A5A5BB2
	v_mul_f32_e32 v46, v178, v46                               // 00000000E00C: 0A5C5DB2
	v_mul_f32_e32 v47, v178, v47                               // 00000000E010: 0A5E5FB2
	v_mul_f32_e32 v48, v178, v48                               // 00000000E014: 0A6061B2
	v_mul_f32_e32 v49, v178, v49                               // 00000000E018: 0A6263B2
	v_mul_f32_e32 v50, v178, v50                               // 00000000E01C: 0A6465B2
	v_mul_f32_e32 v51, v178, v51                               // 00000000E020: 0A6667B2
	v_mul_f32_e32 v52, v179, v52                               // 00000000E024: 0A6869B3
	v_mul_f32_e32 v53, v179, v53                               // 00000000E028: 0A6A6BB3
	v_mul_f32_e32 v54, v179, v54                               // 00000000E02C: 0A6C6DB3
	v_mul_f32_e32 v55, v179, v55                               // 00000000E030: 0A6E6FB3
	v_mul_f32_e32 v56, v179, v56                               // 00000000E034: 0A7071B3
	v_mul_f32_e32 v57, v179, v57                               // 00000000E038: 0A7273B3
	v_mul_f32_e32 v58, v179, v58                               // 00000000E03C: 0A7475B3
	v_mul_f32_e32 v59, v179, v59                               // 00000000E040: 0A7677B3
	v_mul_f32_e32 v60, v179, v60                               // 00000000E044: 0A7879B3
	v_mul_f32_e32 v61, v179, v61                               // 00000000E048: 0A7A7BB3
	v_mul_f32_e32 v62, v179, v62                               // 00000000E04C: 0A7C7DB3
	v_mul_f32_e32 v63, v179, v63                               // 00000000E050: 0A7E7FB3
	v_mul_f32_e32 v64, v179, v64                               // 00000000E054: 0A8081B3
	v_mul_f32_e32 v65, v179, v65                               // 00000000E058: 0A8283B3
	v_mul_f32_e32 v66, v179, v66                               // 00000000E05C: 0A8485B3
	v_mul_f32_e32 v67, v179, v67                               // 00000000E060: 0A8687B3
	v_cvt_pk_fp8_f32 v4, v4, v5                                // 00000000E064: D2A20004 00020B04
	v_cvt_pk_fp8_f32 v4, v6, v7 op_sel:[0,0,1]                 // 00000000E06C: D2A24004 00020F06
	v_cvt_pk_fp8_f32 v5, v8, v9                                // 00000000E074: D2A20005 00021308
	v_cvt_pk_fp8_f32 v5, v10, v11 op_sel:[0,0,1]               // 00000000E07C: D2A24005 0002170A
	v_cvt_pk_fp8_f32 v6, v12, v13                              // 00000000E084: D2A20006 00021B0C
	v_cvt_pk_fp8_f32 v6, v14, v15 op_sel:[0,0,1]               // 00000000E08C: D2A24006 00021F0E
	v_cvt_pk_fp8_f32 v7, v16, v17                              // 00000000E094: D2A20007 00022310
	v_cvt_pk_fp8_f32 v7, v18, v19 op_sel:[0,0,1]               // 00000000E09C: D2A24007 00022712
	v_cvt_pk_fp8_f32 v8, v20, v21                              // 00000000E0A4: D2A20008 00022B14
	v_cvt_pk_fp8_f32 v8, v22, v23 op_sel:[0,0,1]               // 00000000E0AC: D2A24008 00022F16
	v_cvt_pk_fp8_f32 v9, v24, v25                              // 00000000E0B4: D2A20009 00023318
	v_cvt_pk_fp8_f32 v9, v26, v27 op_sel:[0,0,1]               // 00000000E0BC: D2A24009 0002371A
	v_cvt_pk_fp8_f32 v10, v28, v29                             // 00000000E0C4: D2A2000A 00023B1C
	v_cvt_pk_fp8_f32 v10, v30, v31 op_sel:[0,0,1]              // 00000000E0CC: D2A2400A 00023F1E
	v_cvt_pk_fp8_f32 v11, v32, v33                             // 00000000E0D4: D2A2000B 00024320
	v_cvt_pk_fp8_f32 v11, v34, v35 op_sel:[0,0,1]              // 00000000E0DC: D2A2400B 00024722
	v_cvt_pk_fp8_f32 v12, v36, v37                             // 00000000E0E4: D2A2000C 00024B24
	v_cvt_pk_fp8_f32 v12, v38, v39 op_sel:[0,0,1]              // 00000000E0EC: D2A2400C 00024F26
	v_cvt_pk_fp8_f32 v13, v40, v41                             // 00000000E0F4: D2A2000D 00025328
	v_cvt_pk_fp8_f32 v13, v42, v43 op_sel:[0,0,1]              // 00000000E0FC: D2A2400D 0002572A
	v_cvt_pk_fp8_f32 v14, v44, v45                             // 00000000E104: D2A2000E 00025B2C
	v_cvt_pk_fp8_f32 v14, v46, v47 op_sel:[0,0,1]              // 00000000E10C: D2A2400E 00025F2E
	v_cvt_pk_fp8_f32 v15, v48, v49                             // 00000000E114: D2A2000F 00026330
	v_cvt_pk_fp8_f32 v15, v50, v51 op_sel:[0,0,1]              // 00000000E11C: D2A2400F 00026732
	v_cvt_pk_fp8_f32 v16, v52, v53                             // 00000000E124: D2A20010 00026B34
	v_cvt_pk_fp8_f32 v16, v54, v55 op_sel:[0,0,1]              // 00000000E12C: D2A24010 00026F36
	v_cvt_pk_fp8_f32 v17, v56, v57                             // 00000000E134: D2A20011 00027338
	v_cvt_pk_fp8_f32 v17, v58, v59 op_sel:[0,0,1]              // 00000000E13C: D2A24011 0002773A
	v_cvt_pk_fp8_f32 v18, v60, v61                             // 00000000E144: D2A20012 00027B3C
	v_cvt_pk_fp8_f32 v18, v62, v63 op_sel:[0,0,1]              // 00000000E14C: D2A24012 00027F3E
	v_cvt_pk_fp8_f32 v19, v64, v65                             // 00000000E154: D2A20013 00028340
	v_cvt_pk_fp8_f32 v19, v66, v67 op_sel:[0,0,1]              // 00000000E15C: D2A24013 00028742
	ds_write_b32 v249, v4 offset:8192                          // 00000000E164: D81A2000 000004F9
	ds_write_b32 v249, v5 offset:9216                          // 00000000E16C: D81A2400 000005F9
	ds_write_b32 v249, v6 offset:10240                         // 00000000E174: D81A2800 000006F9
	ds_write_b32 v249, v7 offset:11264                         // 00000000E17C: D81A2C00 000007F9
	ds_write_b32 v249, v8 offset:12288                         // 00000000E184: D81A3000 000008F9
	ds_write_b32 v249, v9 offset:13312                         // 00000000E18C: D81A3400 000009F9
	ds_write_b32 v249, v10 offset:14336                        // 00000000E194: D81A3800 00000AF9
	ds_write_b32 v249, v11 offset:15360                        // 00000000E19C: D81A3C00 00000BF9
	ds_write_b32 v249, v12 offset:16384                        // 00000000E1A4: D81A4000 00000CF9
	ds_write_b32 v249, v13 offset:17408                        // 00000000E1AC: D81A4400 00000DF9
	ds_write_b32 v249, v14 offset:18432                        // 00000000E1B4: D81A4800 00000EF9
	ds_write_b32 v249, v15 offset:19456                        // 00000000E1BC: D81A4C00 00000FF9
	ds_write_b32 v249, v16 offset:20480                        // 00000000E1C4: D81A5000 000010F9
	ds_write_b32 v249, v17 offset:21504                        // 00000000E1CC: D81A5400 000011F9
	ds_write_b32 v249, v18 offset:22528                        // 00000000E1D4: D81A5800 000012F9
	ds_write_b32 v249, v19 offset:23552                        // 00000000E1DC: D81A5C00 000013F9
	v_rcp_f32_e32 v144, v176                                   // 00000000E1E4: 7F2045B0
	v_rcp_f32_e32 v146, v177                                   // 00000000E1E8: 7F2445B1
	v_rcp_f32_e32 v148, v178                                   // 00000000E1EC: 7F2845B2
	v_rcp_f32_e32 v150, v179                                   // 00000000E1F0: 7F2C45B3
	v_mov_b32_e32 v145, v144                                   // 00000000E1F4: 7F220390
	v_mov_b32_e32 v147, v146                                   // 00000000E1F8: 7F260392
	v_mov_b32_e32 v149, v148                                   // 00000000E1FC: 7F2A0394
	v_mov_b32_e32 v151, v150                                   // 00000000E200: 7F2E0396
	v_pk_add_f32 v[100:101], v[100:101], v[68:69]              // 00000000E204: D3B24064 18028964
	v_pk_add_f32 v[102:103], v[102:103], v[70:71]              // 00000000E20C: D3B24066 18028D66
	v_pk_add_f32 v[104:105], v[104:105], v[72:73]              // 00000000E214: D3B24068 18029168
	v_pk_add_f32 v[106:107], v[106:107], v[74:75]              // 00000000E21C: D3B2406A 1802956A
	v_pk_add_f32 v[108:109], v[108:109], v[76:77]              // 00000000E224: D3B2406C 1802996C
	v_pk_add_f32 v[110:111], v[110:111], v[78:79]              // 00000000E22C: D3B2406E 18029D6E
	v_pk_add_f32 v[112:113], v[112:113], v[80:81]              // 00000000E234: D3B24070 1802A170
	v_pk_add_f32 v[114:115], v[114:115], v[82:83]              // 00000000E23C: D3B24072 1802A572
	v_pk_add_f32 v[116:117], v[116:117], v[84:85]              // 00000000E244: D3B24074 1802A974
	v_pk_add_f32 v[118:119], v[118:119], v[86:87]              // 00000000E24C: D3B24076 1802AD76
	v_pk_add_f32 v[120:121], v[120:121], v[88:89]              // 00000000E254: D3B24078 1802B178
	v_pk_add_f32 v[122:123], v[122:123], v[90:91]              // 00000000E25C: D3B2407A 1802B57A
	v_pk_add_f32 v[124:125], v[124:125], v[92:93]              // 00000000E264: D3B2407C 1802B97C
	v_pk_add_f32 v[126:127], v[126:127], v[94:95]              // 00000000E26C: D3B2407E 1802BD7E
	v_pk_add_f32 v[128:129], v[128:129], v[96:97]              // 00000000E274: D3B24080 1802C180
	v_pk_add_f32 v[130:131], v[130:131], v[98:99]              // 00000000E27C: D3B24082 1802C582
	s_waitcnt lgkmcnt(0)                                       // 00000000E284: BF8CC07F
	s_barrier                                                  // 00000000E288: BF8A0000
	ds_read_b128 v[4:7], v250 offset:8192                      // 00000000E28C: D9FE2000 040000FA
	ds_read_b128 v[8:11], v250 offset:9216                     // 00000000E294: D9FE2400 080000FA
	ds_read_b128 v[12:15], v250 offset:10240                   // 00000000E29C: D9FE2800 0C0000FA
	ds_read_b128 v[16:19], v250 offset:11264                   // 00000000E2A4: D9FE2C00 100000FA
	ds_read_b128 v[20:23], v250 offset:12288                   // 00000000E2AC: D9FE3000 140000FA
	ds_read_b128 v[24:27], v250 offset:13312                   // 00000000E2B4: D9FE3400 180000FA
	ds_read_b128 v[28:31], v250 offset:14336                   // 00000000E2BC: D9FE3800 1C0000FA
	ds_read_b128 v[32:35], v250 offset:15360                   // 00000000E2C4: D9FE3C00 200000FA
	ds_read_b128 v[36:39], v250 offset:16384                   // 00000000E2CC: D9FE4000 240000FA
	ds_read_b128 v[40:43], v250 offset:17408                   // 00000000E2D4: D9FE4400 280000FA
	ds_read_b128 v[44:47], v250 offset:18432                   // 00000000E2DC: D9FE4800 2C0000FA
	ds_read_b128 v[48:51], v250 offset:19456                   // 00000000E2E4: D9FE4C00 300000FA
	ds_read_b128 v[52:55], v250 offset:20480                   // 00000000E2EC: D9FE5000 340000FA
	ds_read_b128 v[56:59], v250 offset:21504                   // 00000000E2F4: D9FE5400 380000FA
	ds_read_b128 v[60:63], v250 offset:22528                   // 00000000E2FC: D9FE5800 3C0000FA
	ds_read_b128 v[64:67], v250 offset:23552                   // 00000000E304: D9FE5C00 400000FA
	s_waitcnt vmcnt(10)                                        // 00000000E30C: BF8C0F7A
	s_waitcnt vmcnt(63) expcnt(7) lgkmcnt(15)                  // 00000000E310: BF8CCF7F
	v_mfma_f32_16x16x32_fp8_fp8 v[68:71], a[128:129], v[4:5], 0// 00000000E314: D3F30044 0A020980
	v_mfma_f32_16x16x32_fp8_fp8 v[72:75], a[144:145], v[4:5], 0// 00000000E31C: D3F30048 0A020990
	v_mfma_f32_16x16x32_fp8_fp8 v[68:71], a[130:131], v[6:7], v[68:71]// 00000000E324: D3F30044 0D120D82
	buffer_load_dwordx4 a[96:99], v227, s[16:19], 0 offen      // 00000000E32C: E05C1000 808460E3
	v_mfma_f32_16x16x32_fp8_fp8 v[72:75], a[146:147], v[6:7], v[72:75]// 00000000E334: D3F30048 0D220D92
	s_waitcnt lgkmcnt(14)                                      // 00000000E33C: BF8CCE7F
	v_mfma_f32_16x16x32_fp8_fp8 v[68:71], a[132:133], v[8:9], v[68:71]// 00000000E340: D3F30044 0D121184
	v_mfma_f32_16x16x32_fp8_fp8 v[72:75], a[148:149], v[8:9], v[72:75]// 00000000E348: D3F30048 0D221194
	v_mfma_f32_16x16x32_fp8_fp8 v[68:71], a[134:135], v[10:11], v[68:71]// 00000000E350: D3F30044 0D121586
	buffer_load_dwordx4 a[100:103], v228, s[16:19], 0 offen    // 00000000E358: E05C1000 808464E4
	v_mfma_f32_16x16x32_fp8_fp8 v[72:75], a[150:151], v[10:11], v[72:75]// 00000000E360: D3F30048 0D221596
	s_waitcnt lgkmcnt(13)                                      // 00000000E368: BF8CCD7F
	v_mfma_f32_16x16x32_fp8_fp8 v[68:71], a[136:137], v[12:13], v[68:71]// 00000000E36C: D3F30044 0D121988
	v_mfma_f32_16x16x32_fp8_fp8 v[72:75], a[152:153], v[12:13], v[72:75]// 00000000E374: D3F30048 0D221998
	v_mfma_f32_16x16x32_fp8_fp8 v[68:71], a[138:139], v[14:15], v[68:71]// 00000000E37C: D3F30044 0D121D8A
	buffer_load_dwordx4 a[104:107], v229, s[16:19], 0 offen    // 00000000E384: E05C1000 808468E5
	v_mfma_f32_16x16x32_fp8_fp8 v[72:75], a[154:155], v[14:15], v[72:75]// 00000000E38C: D3F30048 0D221D9A
	s_waitcnt lgkmcnt(12)                                      // 00000000E394: BF8CCC7F
	v_mfma_f32_16x16x32_fp8_fp8 v[68:71], a[140:141], v[16:17], v[68:71]// 00000000E398: D3F30044 0D12218C
	v_mfma_f32_16x16x32_fp8_fp8 v[72:75], a[156:157], v[16:17], v[72:75]// 00000000E3A0: D3F30048 0D22219C
	v_mfma_f32_16x16x32_fp8_fp8 v[68:71], a[142:143], v[18:19], v[68:71]// 00000000E3A8: D3F30044 0D12258E
	buffer_load_dwordx4 a[108:111], v230, s[16:19], 0 offen    // 00000000E3B0: E05C1000 80846CE6
	v_mfma_f32_16x16x32_fp8_fp8 v[72:75], a[158:159], v[18:19], v[72:75]// 00000000E3B8: D3F30048 0D22259E
	s_waitcnt lgkmcnt(11)                                      // 00000000E3C0: BF8CCB7F
	v_mfma_f32_16x16x32_fp8_fp8 v[76:79], a[128:129], v[20:21], 0// 00000000E3C4: D3F3004C 0A022980
	v_mfma_f32_16x16x32_fp8_fp8 v[80:83], a[144:145], v[20:21], 0// 00000000E3CC: D3F30050 0A022990
	v_mfma_f32_16x16x32_fp8_fp8 v[76:79], a[130:131], v[22:23], v[76:79]// 00000000E3D4: D3F3004C 0D322D82
	buffer_load_dwordx4 a[112:115], v227, s[16:19], 0 offen offset:1024// 00000000E3DC: E05C1400 808470E3
	v_mfma_f32_16x16x32_fp8_fp8 v[80:83], a[146:147], v[22:23], v[80:83]// 00000000E3E4: D3F30050 0D422D92
	s_waitcnt lgkmcnt(10)                                      // 00000000E3EC: BF8CCA7F
	v_mfma_f32_16x16x32_fp8_fp8 v[76:79], a[132:133], v[24:25], v[76:79]// 00000000E3F0: D3F3004C 0D323184
	v_mfma_f32_16x16x32_fp8_fp8 v[80:83], a[148:149], v[24:25], v[80:83]// 00000000E3F8: D3F30050 0D423194
	v_mfma_f32_16x16x32_fp8_fp8 v[76:79], a[134:135], v[26:27], v[76:79]// 00000000E400: D3F3004C 0D323586
	buffer_load_dwordx4 a[116:119], v228, s[16:19], 0 offen offset:1024// 00000000E408: E05C1400 808474E4
	v_mfma_f32_16x16x32_fp8_fp8 v[80:83], a[150:151], v[26:27], v[80:83]// 00000000E410: D3F30050 0D423596
	s_waitcnt lgkmcnt(9)                                       // 00000000E418: BF8CC97F
	v_mfma_f32_16x16x32_fp8_fp8 v[76:79], a[136:137], v[28:29], v[76:79]// 00000000E41C: D3F3004C 0D323988
	v_mfma_f32_16x16x32_fp8_fp8 v[80:83], a[152:153], v[28:29], v[80:83]// 00000000E424: D3F30050 0D423998
	v_mfma_f32_16x16x32_fp8_fp8 v[76:79], a[138:139], v[30:31], v[76:79]// 00000000E42C: D3F3004C 0D323D8A
	buffer_load_dwordx4 a[120:123], v229, s[16:19], 0 offen offset:1024// 00000000E434: E05C1400 808478E5
	v_mfma_f32_16x16x32_fp8_fp8 v[80:83], a[154:155], v[30:31], v[80:83]// 00000000E43C: D3F30050 0D423D9A
	s_waitcnt lgkmcnt(8)                                       // 00000000E444: BF8CC87F
	v_mfma_f32_16x16x32_fp8_fp8 v[76:79], a[140:141], v[32:33], v[76:79]// 00000000E448: D3F3004C 0D32418C
	v_mfma_f32_16x16x32_fp8_fp8 v[80:83], a[156:157], v[32:33], v[80:83]// 00000000E450: D3F30050 0D42419C
	v_mfma_f32_16x16x32_fp8_fp8 v[76:79], a[142:143], v[34:35], v[76:79]// 00000000E458: D3F3004C 0D32458E
	buffer_load_dwordx4 a[124:127], v230, s[16:19], 0 offen offset:1024// 00000000E460: E05C1400 80847CE6
	v_mfma_f32_16x16x32_fp8_fp8 v[80:83], a[158:159], v[34:35], v[80:83]// 00000000E468: D3F30050 0D42459E
	s_waitcnt lgkmcnt(7)                                       // 00000000E470: BF8CC77F
	v_mfma_f32_16x16x32_fp8_fp8 v[84:87], a[128:129], v[36:37], 0// 00000000E474: D3F30054 0A024980
	v_mfma_f32_16x16x32_fp8_fp8 v[88:91], a[144:145], v[36:37], 0// 00000000E47C: D3F30058 0A024990
	v_mfma_f32_16x16x32_fp8_fp8 v[84:87], a[130:131], v[38:39], v[84:87]// 00000000E484: D3F30054 0D524D82
	v_mfma_f32_16x16x32_fp8_fp8 v[88:91], a[146:147], v[38:39], v[88:91]// 00000000E48C: D3F30058 0D624D92
	s_waitcnt lgkmcnt(6)                                       // 00000000E494: BF8CC67F
	v_mfma_f32_16x16x32_fp8_fp8 v[84:87], a[132:133], v[40:41], v[84:87]// 00000000E498: D3F30054 0D525184
	v_mfma_f32_16x16x32_fp8_fp8 v[88:91], a[148:149], v[40:41], v[88:91]// 00000000E4A0: D3F30058 0D625194
	v_mfma_f32_16x16x32_fp8_fp8 v[84:87], a[134:135], v[42:43], v[84:87]// 00000000E4A8: D3F30054 0D525586
	v_mfma_f32_16x16x32_fp8_fp8 v[88:91], a[150:151], v[42:43], v[88:91]// 00000000E4B0: D3F30058 0D625596
	s_waitcnt lgkmcnt(5)                                       // 00000000E4B8: BF8CC57F
	v_mfma_f32_16x16x32_fp8_fp8 v[84:87], a[136:137], v[44:45], v[84:87]// 00000000E4BC: D3F30054 0D525988
	v_mfma_f32_16x16x32_fp8_fp8 v[88:91], a[152:153], v[44:45], v[88:91]// 00000000E4C4: D3F30058 0D625998
	v_mfma_f32_16x16x32_fp8_fp8 v[84:87], a[138:139], v[46:47], v[84:87]// 00000000E4CC: D3F30054 0D525D8A
	v_mfma_f32_16x16x32_fp8_fp8 v[88:91], a[154:155], v[46:47], v[88:91]// 00000000E4D4: D3F30058 0D625D9A
	s_waitcnt lgkmcnt(4)                                       // 00000000E4DC: BF8CC47F
	v_mfma_f32_16x16x32_fp8_fp8 v[84:87], a[140:141], v[48:49], v[84:87]// 00000000E4E0: D3F30054 0D52618C
	v_mfma_f32_16x16x32_fp8_fp8 v[88:91], a[156:157], v[48:49], v[88:91]// 00000000E4E8: D3F30058 0D62619C
	v_mfma_f32_16x16x32_fp8_fp8 v[84:87], a[142:143], v[50:51], v[84:87]// 00000000E4F0: D3F30054 0D52658E
	v_mfma_f32_16x16x32_fp8_fp8 v[88:91], a[158:159], v[50:51], v[88:91]// 00000000E4F8: D3F30058 0D62659E
	s_waitcnt lgkmcnt(3)                                       // 00000000E500: BF8CC37F
	v_mfma_f32_16x16x32_fp8_fp8 v[92:95], a[128:129], v[52:53], 0// 00000000E504: D3F3005C 0A026980
	v_mfma_f32_16x16x32_fp8_fp8 v[96:99], a[144:145], v[52:53], 0// 00000000E50C: D3F30060 0A026990
	v_mfma_f32_16x16x32_fp8_fp8 v[92:95], a[130:131], v[54:55], v[92:95]// 00000000E514: D3F3005C 0D726D82
	v_mfma_f32_16x16x32_fp8_fp8 v[96:99], a[146:147], v[54:55], v[96:99]// 00000000E51C: D3F30060 0D826D92
	s_waitcnt lgkmcnt(2)                                       // 00000000E524: BF8CC27F
	v_mfma_f32_16x16x32_fp8_fp8 v[92:95], a[132:133], v[56:57], v[92:95]// 00000000E528: D3F3005C 0D727184
	v_mfma_f32_16x16x32_fp8_fp8 v[96:99], a[148:149], v[56:57], v[96:99]// 00000000E530: D3F30060 0D827194
	v_mfma_f32_16x16x32_fp8_fp8 v[92:95], a[134:135], v[58:59], v[92:95]// 00000000E538: D3F3005C 0D727586
	v_mfma_f32_16x16x32_fp8_fp8 v[96:99], a[150:151], v[58:59], v[96:99]// 00000000E540: D3F30060 0D827596
	s_waitcnt lgkmcnt(1)                                       // 00000000E548: BF8CC17F
	v_mfma_f32_16x16x32_fp8_fp8 v[92:95], a[136:137], v[60:61], v[92:95]// 00000000E54C: D3F3005C 0D727988
	v_mfma_f32_16x16x32_fp8_fp8 v[96:99], a[152:153], v[60:61], v[96:99]// 00000000E554: D3F30060 0D827998
	v_mfma_f32_16x16x32_fp8_fp8 v[92:95], a[138:139], v[62:63], v[92:95]// 00000000E55C: D3F3005C 0D727D8A
	v_mfma_f32_16x16x32_fp8_fp8 v[96:99], a[154:155], v[62:63], v[96:99]// 00000000E564: D3F30060 0D827D9A
	s_waitcnt lgkmcnt(0)                                       // 00000000E56C: BF8CC07F
	v_mfma_f32_16x16x32_fp8_fp8 v[92:95], a[140:141], v[64:65], v[92:95]// 00000000E570: D3F3005C 0D72818C
	v_mfma_f32_16x16x32_fp8_fp8 v[96:99], a[156:157], v[64:65], v[96:99]// 00000000E578: D3F30060 0D82819C
	v_mfma_f32_16x16x32_fp8_fp8 v[92:95], a[142:143], v[66:67], v[92:95]// 00000000E580: D3F3005C 0D72858E
	v_mfma_f32_16x16x32_fp8_fp8 v[96:99], a[158:159], v[66:67], v[96:99]// 00000000E588: D3F30060 0D82859E
	s_addk_i32 s64, 0x100                                      // 00000000E590: B7400100
	s_branch label_1A5C                                        // 00000000E594: BF82EA76

000000000000e598 <label_2FE6>:
	s_cmp_lt_i32 s64, s62                                      // 00000000E598: BF043E40
	s_cbranch_scc0 label_5418                                  // 00000000E59C: BF842430
	s_waitcnt vmcnt(10)                                        // 00000000E5A0: BF8C0F7A
	v_mfma_f32_16x16x32_fp8_fp8 v[4:7], a[32:33], a[0:1], 0    // 00000000E5A4: D3F30004 1A020120
	s_add_u32 s12, s86, s69                                    // 00000000E5AC: 800C4556
	s_addc_u32 s13, s87, 0                                     // 00000000E5B0: 820D8057
	v_mfma_f32_16x16x32_fp8_fp8 v[4:7], a[34:35], a[2:3], v[4:7]// 00000000E5B4: D3F30004 1C120522
	s_add_u32 s16, s88, s70                                    // 00000000E5BC: 80104658
	s_addc_u32 s17, s89, 0                                     // 00000000E5C0: 82118059
	v_mfma_f32_16x16x32_fp8_fp8 v[4:7], a[36:37], a[4:5], v[4:7]// 00000000E5C4: D3F30004 1C120924
	buffer_load_dwordx4 a[64:67], v225, s[12:15], 0 offen      // 00000000E5CC: E05C1000 808340E1
	v_mfma_f32_16x16x32_fp8_fp8 v[4:7], a[38:39], a[6:7], v[4:7]// 00000000E5D4: D3F30004 1C120D26
	s_add_u32 s20, s90, s71                                    // 00000000E5DC: 8014475A
	s_addc_u32 s21, s91, 0                                     // 00000000E5E0: 8215805B
	v_mfma_f32_16x16x32_fp8_fp8 v[8:11], a[40:41], a[0:1], 0   // 00000000E5E4: D3F30008 1A020128
	s_add_u32 s24, s92, s71                                    // 00000000E5EC: 8018475C
	s_addc_u32 s25, s93, 0                                     // 00000000E5F0: 8219805D
	v_mfma_f32_16x16x32_fp8_fp8 v[8:11], a[42:43], a[2:3], v[8:11]// 00000000E5F4: D3F30008 1C22052A
	s_add_u32 s69, s69, 0x1000                                 // 00000000E5FC: 8045FF45 00001000
	s_add_u32 s70, s70, 0x8000                                 // 00000000E604: 8046FF46 00008000
	v_mfma_f32_16x16x32_fp8_fp8 v[8:11], a[44:45], a[4:5], v[8:11]// 00000000E60C: D3F30008 1C22092C
	buffer_load_dwordx4 a[68:71], v226, s[12:15], 0 offen      // 00000000E614: E05C1000 808344E2
	v_mfma_f32_16x16x32_fp8_fp8 v[8:11], a[46:47], a[6:7], v[8:11]// 00000000E61C: D3F30008 1C220D2E
	v_mfma_f32_16x16x32_fp8_fp8 v[12:15], a[48:49], a[0:1], 0  // 00000000E624: D3F3000C 1A020130
	v_mfma_f32_16x16x32_fp8_fp8 v[12:15], a[50:51], a[2:3], v[12:15]// 00000000E62C: D3F3000C 1C320532
	v_mfma_f32_16x16x32_fp8_fp8 v[12:15], a[52:53], a[4:5], v[12:15]// 00000000E634: D3F3000C 1C320934
	buffer_load_dwordx4 a[72:75], v225, s[12:15], 0 offen offset:1024// 00000000E63C: E05C1400 808348E1
	v_mfma_f32_16x16x32_fp8_fp8 v[12:15], a[54:55], a[6:7], v[12:15]// 00000000E644: D3F3000C 1C320D36
	v_mfma_f32_16x16x32_fp8_fp8 v[16:19], a[56:57], a[0:1], 0  // 00000000E64C: D3F30010 1A020138
	v_mfma_f32_16x16x32_fp8_fp8 v[16:19], a[58:59], a[2:3], v[16:19]// 00000000E654: D3F30010 1C42053A
	v_mfma_f32_16x16x32_fp8_fp8 v[16:19], a[60:61], a[4:5], v[16:19]// 00000000E65C: D3F30010 1C42093C
	buffer_load_dwordx4 a[76:79], v226, s[12:15], 0 offen offset:1024// 00000000E664: E05C1400 80834CE2
	v_mfma_f32_16x16x32_fp8_fp8 v[16:19], a[62:63], a[6:7], v[16:19]// 00000000E66C: D3F30010 1C420D3E
	v_mfma_f32_16x16x32_fp8_fp8 v[20:23], a[32:33], a[8:9], 0  // 00000000E674: D3F30014 1A021120
	v_mfma_f32_16x16x32_fp8_fp8 v[20:23], a[34:35], a[10:11], v[20:23]// 00000000E67C: D3F30014 1C521522
	v_mfma_f32_16x16x32_fp8_fp8 v[20:23], a[36:37], a[12:13], v[20:23]// 00000000E684: D3F30014 1C521924
	buffer_load_dwordx4 a[80:83], v225, s[12:15], 0 offen offset:2048// 00000000E68C: E05C1800 808350E1
	v_mfma_f32_16x16x32_fp8_fp8 v[20:23], a[38:39], a[14:15], v[20:23]// 00000000E694: D3F30014 1C521D26
	v_mfma_f32_16x16x32_fp8_fp8 v[24:27], a[40:41], a[8:9], 0  // 00000000E69C: D3F30018 1A021128
	v_mfma_f32_16x16x32_fp8_fp8 v[24:27], a[42:43], a[10:11], v[24:27]// 00000000E6A4: D3F30018 1C62152A
	v_mfma_f32_16x16x32_fp8_fp8 v[24:27], a[44:45], a[12:13], v[24:27]// 00000000E6AC: D3F30018 1C62192C
	buffer_load_dwordx4 a[84:87], v226, s[12:15], 0 offen offset:2048// 00000000E6B4: E05C1800 808354E2
	v_mfma_f32_16x16x32_fp8_fp8 v[24:27], a[46:47], a[14:15], v[24:27]// 00000000E6BC: D3F30018 1C621D2E
	v_mfma_f32_16x16x32_fp8_fp8 v[28:31], a[48:49], a[8:9], 0  // 00000000E6C4: D3F3001C 1A021130
	v_mfma_f32_16x16x32_fp8_fp8 v[28:31], a[50:51], a[10:11], v[28:31]// 00000000E6CC: D3F3001C 1C721532
	v_mfma_f32_16x16x32_fp8_fp8 v[28:31], a[52:53], a[12:13], v[28:31]// 00000000E6D4: D3F3001C 1C721934
	buffer_load_dwordx4 a[88:91], v225, s[12:15], 0 offen offset:3072// 00000000E6DC: E05C1C00 808358E1
	v_mfma_f32_16x16x32_fp8_fp8 v[28:31], a[54:55], a[14:15], v[28:31]// 00000000E6E4: D3F3001C 1C721D36
	v_mfma_f32_16x16x32_fp8_fp8 v[32:35], a[56:57], a[8:9], 0  // 00000000E6EC: D3F30020 1A021138
	v_mfma_f32_16x16x32_fp8_fp8 v[32:35], a[58:59], a[10:11], v[32:35]// 00000000E6F4: D3F30020 1C82153A
	v_mfma_f32_16x16x32_fp8_fp8 v[32:35], a[60:61], a[12:13], v[32:35]// 00000000E6FC: D3F30020 1C82193C
	buffer_load_dwordx4 a[92:95], v226, s[12:15], 0 offen offset:3072// 00000000E704: E05C1C00 80835CE2
	v_mfma_f32_16x16x32_fp8_fp8 v[32:35], a[62:63], a[14:15], v[32:35]// 00000000E70C: D3F30020 1C821D3E
	v_mfma_f32_16x16x32_fp8_fp8 v[36:39], a[32:33], a[16:17], 0// 00000000E714: D3F30024 1A022120
	v_mfma_f32_16x16x32_fp8_fp8 v[36:39], a[34:35], a[18:19], v[36:39]// 00000000E71C: D3F30024 1C922522
	v_mfma_f32_16x16x32_fp8_fp8 v[36:39], a[36:37], a[20:21], v[36:39]// 00000000E724: D3F30024 1C922924
	v_mfma_f32_16x16x32_fp8_fp8 v[36:39], a[38:39], a[22:23], v[36:39]// 00000000E72C: D3F30024 1C922D26
	v_mfma_f32_16x16x32_fp8_fp8 v[40:43], a[40:41], a[16:17], 0// 00000000E734: D3F30028 1A022128
	v_mfma_f32_16x16x32_fp8_fp8 v[40:43], a[42:43], a[18:19], v[40:43]// 00000000E73C: D3F30028 1CA2252A
	v_mfma_f32_16x16x32_fp8_fp8 v[40:43], a[44:45], a[20:21], v[40:43]// 00000000E744: D3F30028 1CA2292C
	v_mfma_f32_16x16x32_fp8_fp8 v[40:43], a[46:47], a[22:23], v[40:43]// 00000000E74C: D3F30028 1CA22D2E
	v_mfma_f32_16x16x32_fp8_fp8 v[44:47], a[48:49], a[16:17], 0// 00000000E754: D3F3002C 1A022130
	v_mfma_f32_16x16x32_fp8_fp8 v[44:47], a[50:51], a[18:19], v[44:47]// 00000000E75C: D3F3002C 1CB22532
	v_mfma_f32_16x16x32_fp8_fp8 v[44:47], a[52:53], a[20:21], v[44:47]// 00000000E764: D3F3002C 1CB22934
	v_mfma_f32_16x16x32_fp8_fp8 v[44:47], a[54:55], a[22:23], v[44:47]// 00000000E76C: D3F3002C 1CB22D36
	v_mfma_f32_16x16x32_fp8_fp8 v[48:51], a[56:57], a[16:17], 0// 00000000E774: D3F30030 1A022138
	v_mfma_f32_16x16x32_fp8_fp8 v[48:51], a[58:59], a[18:19], v[48:51]// 00000000E77C: D3F30030 1CC2253A
	v_mfma_f32_16x16x32_fp8_fp8 v[48:51], a[60:61], a[20:21], v[48:51]// 00000000E784: D3F30030 1CC2293C
	v_mfma_f32_16x16x32_fp8_fp8 v[48:51], a[62:63], a[22:23], v[48:51]// 00000000E78C: D3F30030 1CC22D3E
	v_mfma_f32_16x16x32_fp8_fp8 v[52:55], a[32:33], a[24:25], 0// 00000000E794: D3F30034 1A023120
	v_mfma_f32_16x16x32_fp8_fp8 v[52:55], a[34:35], a[26:27], v[52:55]// 00000000E79C: D3F30034 1CD23522
	v_mfma_f32_16x16x32_fp8_fp8 v[52:55], a[36:37], a[28:29], v[52:55]// 00000000E7A4: D3F30034 1CD23924
	v_mfma_f32_16x16x32_fp8_fp8 v[52:55], a[38:39], a[30:31], v[52:55]// 00000000E7AC: D3F30034 1CD23D26
	v_mfma_f32_16x16x32_fp8_fp8 v[56:59], a[40:41], a[24:25], 0// 00000000E7B4: D3F30038 1A023128
	v_mfma_f32_16x16x32_fp8_fp8 v[56:59], a[42:43], a[26:27], v[56:59]// 00000000E7BC: D3F30038 1CE2352A
	v_mfma_f32_16x16x32_fp8_fp8 v[56:59], a[44:45], a[28:29], v[56:59]// 00000000E7C4: D3F30038 1CE2392C
	v_mfma_f32_16x16x32_fp8_fp8 v[56:59], a[46:47], a[30:31], v[56:59]// 00000000E7CC: D3F30038 1CE23D2E
	v_mfma_f32_16x16x32_fp8_fp8 v[60:63], a[48:49], a[24:25], 0// 00000000E7D4: D3F3003C 1A023130
	v_mfma_f32_16x16x32_fp8_fp8 v[60:63], a[50:51], a[26:27], v[60:63]// 00000000E7DC: D3F3003C 1CF23532
	v_mfma_f32_16x16x32_fp8_fp8 v[60:63], a[52:53], a[28:29], v[60:63]// 00000000E7E4: D3F3003C 1CF23934
	v_mfma_f32_16x16x32_fp8_fp8 v[60:63], a[54:55], a[30:31], v[60:63]// 00000000E7EC: D3F3003C 1CF23D36
	v_mfma_f32_16x16x32_fp8_fp8 v[64:67], a[56:57], a[24:25], 0// 00000000E7F4: D3F30040 1A023138
	v_mfma_f32_16x16x32_fp8_fp8 v[64:67], a[58:59], a[26:27], v[64:67]// 00000000E7FC: D3F30040 1D02353A
	v_mfma_f32_16x16x32_fp8_fp8 v[64:67], a[60:61], a[28:29], v[64:67]// 00000000E804: D3F30040 1D02393C
	v_mfma_f32_16x16x32_fp8_fp8 v[64:67], a[62:63], a[30:31], v[64:67]// 00000000E80C: D3F30040 1D023D3E
	s_waitcnt vmcnt(16)                                        // 00000000E814: BF8C4F70
	v_pk_mul_f32 v[4:5], v[132:133], v[4:5]                    // 00000000E818: D3B14004 18020984
	v_pk_mul_f32 v[6:7], v[132:133], v[6:7]                    // 00000000E820: D3B14006 18020D84
	v_mul_f32_dpp v4, v140, v4 row_newbcast:0 row_mask:0xf bank_mask:0xf// 00000000E828: 0A0808FA FF01508C
	v_mul_f32_dpp v5, v140, v5 row_newbcast:1 row_mask:0xf bank_mask:0xf// 00000000E830: 0A0A0AFA FF01518C
	v_mul_f32_dpp v6, v140, v6 row_newbcast:2 row_mask:0xf bank_mask:0xf// 00000000E838: 0A0C0CFA FF01528C
	v_mul_f32_dpp v7, v140, v7 row_newbcast:3 row_mask:0xf bank_mask:0xf// 00000000E840: 0A0E0EFA FF01538C
	v_pk_mul_f32 v[8:9], v[132:133], v[8:9]                    // 00000000E848: D3B14008 18021184
	v_pk_mul_f32 v[10:11], v[132:133], v[10:11]                // 00000000E850: D3B1400A 18021584
	v_mul_f32_dpp v8, v140, v8 row_newbcast:4 row_mask:0xf bank_mask:0xf// 00000000E858: 0A1010FA FF01548C
	v_mul_f32_dpp v9, v140, v9 row_newbcast:5 row_mask:0xf bank_mask:0xf// 00000000E860: 0A1212FA FF01558C
	v_mul_f32_dpp v10, v140, v10 row_newbcast:6 row_mask:0xf bank_mask:0xf// 00000000E868: 0A1414FA FF01568C
	v_mul_f32_dpp v11, v140, v11 row_newbcast:7 row_mask:0xf bank_mask:0xf// 00000000E870: 0A1616FA FF01578C
	v_pk_mul_f32 v[12:13], v[132:133], v[12:13]                // 00000000E878: D3B1400C 18021984
	v_pk_mul_f32 v[14:15], v[132:133], v[14:15]                // 00000000E880: D3B1400E 18021D84
	v_mul_f32_dpp v12, v140, v12 row_newbcast:8 row_mask:0xf bank_mask:0xf// 00000000E888: 0A1818FA FF01588C
	v_mul_f32_dpp v13, v140, v13 row_newbcast:9 row_mask:0xf bank_mask:0xf// 00000000E890: 0A1A1AFA FF01598C
	v_mul_f32_dpp v14, v140, v14 row_newbcast:10 row_mask:0xf bank_mask:0xf// 00000000E898: 0A1C1CFA FF015A8C
	v_mul_f32_dpp v15, v140, v15 row_newbcast:11 row_mask:0xf bank_mask:0xf// 00000000E8A0: 0A1E1EFA FF015B8C
	v_pk_mul_f32 v[16:17], v[132:133], v[16:17]                // 00000000E8A8: D3B14010 18022184
	v_pk_mul_f32 v[18:19], v[132:133], v[18:19]                // 00000000E8B0: D3B14012 18022584
	v_mul_f32_dpp v16, v140, v16 row_newbcast:12 row_mask:0xf bank_mask:0xf// 00000000E8B8: 0A2020FA FF015C8C
	v_mul_f32_dpp v17, v140, v17 row_newbcast:13 row_mask:0xf bank_mask:0xf// 00000000E8C0: 0A2222FA FF015D8C
	v_mul_f32_dpp v18, v140, v18 row_newbcast:14 row_mask:0xf bank_mask:0xf// 00000000E8C8: 0A2424FA FF015E8C
	v_mul_f32_dpp v19, v140, v19 row_newbcast:15 row_mask:0xf bank_mask:0xf// 00000000E8D0: 0A2626FA FF015F8C
	v_pk_mul_f32 v[20:21], v[134:135], v[20:21]                // 00000000E8D8: D3B14014 18022986
	v_pk_mul_f32 v[22:23], v[134:135], v[22:23]                // 00000000E8E0: D3B14016 18022D86
	v_mul_f32_dpp v20, v140, v20 row_newbcast:0 row_mask:0xf bank_mask:0xf// 00000000E8E8: 0A2828FA FF01508C
	v_mul_f32_dpp v21, v140, v21 row_newbcast:1 row_mask:0xf bank_mask:0xf// 00000000E8F0: 0A2A2AFA FF01518C
	v_mul_f32_dpp v22, v140, v22 row_newbcast:2 row_mask:0xf bank_mask:0xf// 00000000E8F8: 0A2C2CFA FF01528C
	v_mul_f32_dpp v23, v140, v23 row_newbcast:3 row_mask:0xf bank_mask:0xf// 00000000E900: 0A2E2EFA FF01538C
	v_pk_mul_f32 v[24:25], v[134:135], v[24:25]                // 00000000E908: D3B14018 18023186
	v_pk_mul_f32 v[26:27], v[134:135], v[26:27]                // 00000000E910: D3B1401A 18023586
	v_mul_f32_dpp v24, v140, v24 row_newbcast:4 row_mask:0xf bank_mask:0xf// 00000000E918: 0A3030FA FF01548C
	v_mul_f32_dpp v25, v140, v25 row_newbcast:5 row_mask:0xf bank_mask:0xf// 00000000E920: 0A3232FA FF01558C
	v_mul_f32_dpp v26, v140, v26 row_newbcast:6 row_mask:0xf bank_mask:0xf// 00000000E928: 0A3434FA FF01568C
	v_mul_f32_dpp v27, v140, v27 row_newbcast:7 row_mask:0xf bank_mask:0xf// 00000000E930: 0A3636FA FF01578C
	v_pk_mul_f32 v[28:29], v[134:135], v[28:29]                // 00000000E938: D3B1401C 18023986
	v_pk_mul_f32 v[30:31], v[134:135], v[30:31]                // 00000000E940: D3B1401E 18023D86
	v_mul_f32_dpp v28, v140, v28 row_newbcast:8 row_mask:0xf bank_mask:0xf// 00000000E948: 0A3838FA FF01588C
	v_mul_f32_dpp v29, v140, v29 row_newbcast:9 row_mask:0xf bank_mask:0xf// 00000000E950: 0A3A3AFA FF01598C
	v_mul_f32_dpp v30, v140, v30 row_newbcast:10 row_mask:0xf bank_mask:0xf// 00000000E958: 0A3C3CFA FF015A8C
	v_mul_f32_dpp v31, v140, v31 row_newbcast:11 row_mask:0xf bank_mask:0xf// 00000000E960: 0A3E3EFA FF015B8C
	v_pk_mul_f32 v[32:33], v[134:135], v[32:33]                // 00000000E968: D3B14020 18024186
	v_pk_mul_f32 v[34:35], v[134:135], v[34:35]                // 00000000E970: D3B14022 18024586
	v_mul_f32_dpp v32, v140, v32 row_newbcast:12 row_mask:0xf bank_mask:0xf// 00000000E978: 0A4040FA FF015C8C
	v_mul_f32_dpp v33, v140, v33 row_newbcast:13 row_mask:0xf bank_mask:0xf// 00000000E980: 0A4242FA FF015D8C
	v_mul_f32_dpp v34, v140, v34 row_newbcast:14 row_mask:0xf bank_mask:0xf// 00000000E988: 0A4444FA FF015E8C
	v_mul_f32_dpp v35, v140, v35 row_newbcast:15 row_mask:0xf bank_mask:0xf// 00000000E990: 0A4646FA FF015F8C
	v_pk_mul_f32 v[36:37], v[136:137], v[36:37]                // 00000000E998: D3B14024 18024988
	v_pk_mul_f32 v[38:39], v[136:137], v[38:39]                // 00000000E9A0: D3B14026 18024D88
	v_mul_f32_dpp v36, v140, v36 row_newbcast:0 row_mask:0xf bank_mask:0xf// 00000000E9A8: 0A4848FA FF01508C
	v_mul_f32_dpp v37, v140, v37 row_newbcast:1 row_mask:0xf bank_mask:0xf// 00000000E9B0: 0A4A4AFA FF01518C
	v_mul_f32_dpp v38, v140, v38 row_newbcast:2 row_mask:0xf bank_mask:0xf// 00000000E9B8: 0A4C4CFA FF01528C
	v_mul_f32_dpp v39, v140, v39 row_newbcast:3 row_mask:0xf bank_mask:0xf// 00000000E9C0: 0A4E4EFA FF01538C
	v_pk_mul_f32 v[40:41], v[136:137], v[40:41]                // 00000000E9C8: D3B14028 18025188
	v_pk_mul_f32 v[42:43], v[136:137], v[42:43]                // 00000000E9D0: D3B1402A 18025588
	v_mul_f32_dpp v40, v140, v40 row_newbcast:4 row_mask:0xf bank_mask:0xf// 00000000E9D8: 0A5050FA FF01548C
	v_mul_f32_dpp v41, v140, v41 row_newbcast:5 row_mask:0xf bank_mask:0xf// 00000000E9E0: 0A5252FA FF01558C
	v_mul_f32_dpp v42, v140, v42 row_newbcast:6 row_mask:0xf bank_mask:0xf// 00000000E9E8: 0A5454FA FF01568C
	v_mul_f32_dpp v43, v140, v43 row_newbcast:7 row_mask:0xf bank_mask:0xf// 00000000E9F0: 0A5656FA FF01578C
	v_pk_mul_f32 v[44:45], v[136:137], v[44:45]                // 00000000E9F8: D3B1402C 18025988
	v_pk_mul_f32 v[46:47], v[136:137], v[46:47]                // 00000000EA00: D3B1402E 18025D88
	v_mul_f32_dpp v44, v140, v44 row_newbcast:8 row_mask:0xf bank_mask:0xf// 00000000EA08: 0A5858FA FF01588C
	v_mul_f32_dpp v45, v140, v45 row_newbcast:9 row_mask:0xf bank_mask:0xf// 00000000EA10: 0A5A5AFA FF01598C
	v_mul_f32_dpp v46, v140, v46 row_newbcast:10 row_mask:0xf bank_mask:0xf// 00000000EA18: 0A5C5CFA FF015A8C
	v_mul_f32_dpp v47, v140, v47 row_newbcast:11 row_mask:0xf bank_mask:0xf// 00000000EA20: 0A5E5EFA FF015B8C
	v_pk_mul_f32 v[48:49], v[136:137], v[48:49]                // 00000000EA28: D3B14030 18026188
	v_pk_mul_f32 v[50:51], v[136:137], v[50:51]                // 00000000EA30: D3B14032 18026588
	v_mul_f32_dpp v48, v140, v48 row_newbcast:12 row_mask:0xf bank_mask:0xf// 00000000EA38: 0A6060FA FF015C8C
	v_mul_f32_dpp v49, v140, v49 row_newbcast:13 row_mask:0xf bank_mask:0xf// 00000000EA40: 0A6262FA FF015D8C
	v_mul_f32_dpp v50, v140, v50 row_newbcast:14 row_mask:0xf bank_mask:0xf// 00000000EA48: 0A6464FA FF015E8C
	v_mul_f32_dpp v51, v140, v51 row_newbcast:15 row_mask:0xf bank_mask:0xf// 00000000EA50: 0A6666FA FF015F8C
	v_pk_mul_f32 v[52:53], v[138:139], v[52:53]                // 00000000EA58: D3B14034 1802698A
	v_pk_mul_f32 v[54:55], v[138:139], v[54:55]                // 00000000EA60: D3B14036 18026D8A
	v_mul_f32_dpp v52, v140, v52 row_newbcast:0 row_mask:0xf bank_mask:0xf// 00000000EA68: 0A6868FA FF01508C
	v_mul_f32_dpp v53, v140, v53 row_newbcast:1 row_mask:0xf bank_mask:0xf// 00000000EA70: 0A6A6AFA FF01518C
	v_mul_f32_dpp v54, v140, v54 row_newbcast:2 row_mask:0xf bank_mask:0xf// 00000000EA78: 0A6C6CFA FF01528C
	v_mul_f32_dpp v55, v140, v55 row_newbcast:3 row_mask:0xf bank_mask:0xf// 00000000EA80: 0A6E6EFA FF01538C
	v_pk_mul_f32 v[56:57], v[138:139], v[56:57]                // 00000000EA88: D3B14038 1802718A
	v_pk_mul_f32 v[58:59], v[138:139], v[58:59]                // 00000000EA90: D3B1403A 1802758A
	v_mul_f32_dpp v56, v140, v56 row_newbcast:4 row_mask:0xf bank_mask:0xf// 00000000EA98: 0A7070FA FF01548C
	v_mul_f32_dpp v57, v140, v57 row_newbcast:5 row_mask:0xf bank_mask:0xf// 00000000EAA0: 0A7272FA FF01558C
	v_mul_f32_dpp v58, v140, v58 row_newbcast:6 row_mask:0xf bank_mask:0xf// 00000000EAA8: 0A7474FA FF01568C
	v_mul_f32_dpp v59, v140, v59 row_newbcast:7 row_mask:0xf bank_mask:0xf// 00000000EAB0: 0A7676FA FF01578C
	v_pk_mul_f32 v[60:61], v[138:139], v[60:61]                // 00000000EAB8: D3B1403C 1802798A
	v_pk_mul_f32 v[62:63], v[138:139], v[62:63]                // 00000000EAC0: D3B1403E 18027D8A
	v_mul_f32_dpp v60, v140, v60 row_newbcast:8 row_mask:0xf bank_mask:0xf// 00000000EAC8: 0A7878FA FF01588C
	v_mul_f32_dpp v61, v140, v61 row_newbcast:9 row_mask:0xf bank_mask:0xf// 00000000EAD0: 0A7A7AFA FF01598C
	v_mul_f32_dpp v62, v140, v62 row_newbcast:10 row_mask:0xf bank_mask:0xf// 00000000EAD8: 0A7C7CFA FF015A8C
	v_mul_f32_dpp v63, v140, v63 row_newbcast:11 row_mask:0xf bank_mask:0xf// 00000000EAE0: 0A7E7EFA FF015B8C
	v_pk_mul_f32 v[64:65], v[138:139], v[64:65]                // 00000000EAE8: D3B14040 1802818A
	v_pk_mul_f32 v[66:67], v[138:139], v[66:67]                // 00000000EAF0: D3B14042 1802858A
	v_mul_f32_dpp v64, v140, v64 row_newbcast:12 row_mask:0xf bank_mask:0xf// 00000000EAF8: 0A8080FA FF015C8C
	v_mul_f32_dpp v65, v140, v65 row_newbcast:13 row_mask:0xf bank_mask:0xf// 00000000EB00: 0A8282FA FF015D8C
	v_mul_f32_dpp v66, v140, v66 row_newbcast:14 row_mask:0xf bank_mask:0xf// 00000000EB08: 0A8484FA FF015E8C
	v_mul_f32_dpp v67, v140, v67 row_newbcast:15 row_mask:0xf bank_mask:0xf// 00000000EB10: 0A8686FA FF015F8C
	v_add_u32_e32 v196, s64, v215                              // 00000000EB18: 6989AE40
	v_add_u32_e32 v197, 0, v196                                // 00000000EB1C: 698B8880
	v_cmp_lt_u32_e64 s[98:99], v197, v211                      // 00000000EB20: D0C90062 0003A7C5
	s_nop 0                                                    // 00000000EB28: BF800000
	v_cndmask_b32_e64 v4, v216, v4, s[98:99]                   // 00000000EB2C: D1000004 018A09D8
	v_add_u32_e32 v197, 1, v196                                // 00000000EB34: 698B8881
	v_cmp_lt_u32_e64 s[98:99], v197, v211                      // 00000000EB38: D0C90062 0003A7C5
	s_nop 0                                                    // 00000000EB40: BF800000
	v_cndmask_b32_e64 v5, v216, v5, s[98:99]                   // 00000000EB44: D1000005 018A0BD8
	v_add_u32_e32 v197, 2, v196                                // 00000000EB4C: 698B8882
	v_cmp_lt_u32_e64 s[98:99], v197, v211                      // 00000000EB50: D0C90062 0003A7C5
	s_nop 0                                                    // 00000000EB58: BF800000
	v_cndmask_b32_e64 v6, v216, v6, s[98:99]                   // 00000000EB5C: D1000006 018A0DD8
	v_add_u32_e32 v197, 3, v196                                // 00000000EB64: 698B8883
	v_cmp_lt_u32_e64 s[98:99], v197, v211                      // 00000000EB68: D0C90062 0003A7C5
	s_nop 0                                                    // 00000000EB70: BF800000
	v_cndmask_b32_e64 v7, v216, v7, s[98:99]                   // 00000000EB74: D1000007 018A0FD8
	v_add_u32_e32 v197, 64, v196                               // 00000000EB7C: 698B88C0
	v_cmp_lt_u32_e64 s[98:99], v197, v211                      // 00000000EB80: D0C90062 0003A7C5
	s_nop 0                                                    // 00000000EB88: BF800000
	v_cndmask_b32_e64 v8, v216, v8, s[98:99]                   // 00000000EB8C: D1000008 018A11D8
	v_add_u32_e32 v197, 0x41, v196                             // 00000000EB94: 698B88FF 00000041
	v_cmp_lt_u32_e64 s[98:99], v197, v211                      // 00000000EB9C: D0C90062 0003A7C5
	s_nop 0                                                    // 00000000EBA4: BF800000
	v_cndmask_b32_e64 v9, v216, v9, s[98:99]                   // 00000000EBA8: D1000009 018A13D8
	v_add_u32_e32 v197, 0x42, v196                             // 00000000EBB0: 698B88FF 00000042
	v_cmp_lt_u32_e64 s[98:99], v197, v211                      // 00000000EBB8: D0C90062 0003A7C5
	s_nop 0                                                    // 00000000EBC0: BF800000
	v_cndmask_b32_e64 v10, v216, v10, s[98:99]                 // 00000000EBC4: D100000A 018A15D8
	v_add_u32_e32 v197, 0x43, v196                             // 00000000EBCC: 698B88FF 00000043
	v_cmp_lt_u32_e64 s[98:99], v197, v211                      // 00000000EBD4: D0C90062 0003A7C5
	s_nop 0                                                    // 00000000EBDC: BF800000
	v_cndmask_b32_e64 v11, v216, v11, s[98:99]                 // 00000000EBE0: D100000B 018A17D8
	v_add_u32_e32 v197, 0x80, v196                             // 00000000EBE8: 698B88FF 00000080
	v_cmp_lt_u32_e64 s[98:99], v197, v211                      // 00000000EBF0: D0C90062 0003A7C5
	s_nop 0                                                    // 00000000EBF8: BF800000
	v_cndmask_b32_e64 v12, v216, v12, s[98:99]                 // 00000000EBFC: D100000C 018A19D8
	v_add_u32_e32 v197, 0x81, v196                             // 00000000EC04: 698B88FF 00000081
	v_cmp_lt_u32_e64 s[98:99], v197, v211                      // 00000000EC0C: D0C90062 0003A7C5
	s_nop 0                                                    // 00000000EC14: BF800000
	v_cndmask_b32_e64 v13, v216, v13, s[98:99]                 // 00000000EC18: D100000D 018A1BD8
	v_add_u32_e32 v197, 0x82, v196                             // 00000000EC20: 698B88FF 00000082
	v_cmp_lt_u32_e64 s[98:99], v197, v211                      // 00000000EC28: D0C90062 0003A7C5
	s_nop 0                                                    // 00000000EC30: BF800000
	v_cndmask_b32_e64 v14, v216, v14, s[98:99]                 // 00000000EC34: D100000E 018A1DD8
	v_add_u32_e32 v197, 0x83, v196                             // 00000000EC3C: 698B88FF 00000083
	v_cmp_lt_u32_e64 s[98:99], v197, v211                      // 00000000EC44: D0C90062 0003A7C5
	s_nop 0                                                    // 00000000EC4C: BF800000
	v_cndmask_b32_e64 v15, v216, v15, s[98:99]                 // 00000000EC50: D100000F 018A1FD8
	v_add_u32_e32 v197, 0xc0, v196                             // 00000000EC58: 698B88FF 000000C0
	v_cmp_lt_u32_e64 s[98:99], v197, v211                      // 00000000EC60: D0C90062 0003A7C5
	s_nop 0                                                    // 00000000EC68: BF800000
	v_cndmask_b32_e64 v16, v216, v16, s[98:99]                 // 00000000EC6C: D1000010 018A21D8
	v_add_u32_e32 v197, 0xc1, v196                             // 00000000EC74: 698B88FF 000000C1
	v_cmp_lt_u32_e64 s[98:99], v197, v211                      // 00000000EC7C: D0C90062 0003A7C5
	s_nop 0                                                    // 00000000EC84: BF800000
	v_cndmask_b32_e64 v17, v216, v17, s[98:99]                 // 00000000EC88: D1000011 018A23D8
	v_add_u32_e32 v197, 0xc2, v196                             // 00000000EC90: 698B88FF 000000C2
	v_cmp_lt_u32_e64 s[98:99], v197, v211                      // 00000000EC98: D0C90062 0003A7C5
	s_nop 0                                                    // 00000000ECA0: BF800000
	v_cndmask_b32_e64 v18, v216, v18, s[98:99]                 // 00000000ECA4: D1000012 018A25D8
	v_add_u32_e32 v197, 0xc3, v196                             // 00000000ECAC: 698B88FF 000000C3
	v_cmp_lt_u32_e64 s[98:99], v197, v211                      // 00000000ECB4: D0C90062 0003A7C5
	s_nop 0                                                    // 00000000ECBC: BF800000
	v_cndmask_b32_e64 v19, v216, v19, s[98:99]                 // 00000000ECC0: D1000013 018A27D8
	v_add_u32_e32 v197, 0, v196                                // 00000000ECC8: 698B8880
	v_cmp_lt_u32_e64 s[98:99], v197, v212                      // 00000000ECCC: D0C90062 0003A9C5
	s_nop 0                                                    // 00000000ECD4: BF800000
	v_cndmask_b32_e64 v20, v216, v20, s[98:99]                 // 00000000ECD8: D1000014 018A29D8
	v_add_u32_e32 v197, 1, v196                                // 00000000ECE0: 698B8881
	v_cmp_lt_u32_e64 s[98:99], v197, v212                      // 00000000ECE4: D0C90062 0003A9C5
	s_nop 0                                                    // 00000000ECEC: BF800000
	v_cndmask_b32_e64 v21, v216, v21, s[98:99]                 // 00000000ECF0: D1000015 018A2BD8
	v_add_u32_e32 v197, 2, v196                                // 00000000ECF8: 698B8882
	v_cmp_lt_u32_e64 s[98:99], v197, v212                      // 00000000ECFC: D0C90062 0003A9C5
	s_nop 0                                                    // 00000000ED04: BF800000
	v_cndmask_b32_e64 v22, v216, v22, s[98:99]                 // 00000000ED08: D1000016 018A2DD8
	v_add_u32_e32 v197, 3, v196                                // 00000000ED10: 698B8883
	v_cmp_lt_u32_e64 s[98:99], v197, v212                      // 00000000ED14: D0C90062 0003A9C5
	s_nop 0                                                    // 00000000ED1C: BF800000
	v_cndmask_b32_e64 v23, v216, v23, s[98:99]                 // 00000000ED20: D1000017 018A2FD8
	v_add_u32_e32 v197, 64, v196                               // 00000000ED28: 698B88C0
	v_cmp_lt_u32_e64 s[98:99], v197, v212                      // 00000000ED2C: D0C90062 0003A9C5
	s_nop 0                                                    // 00000000ED34: BF800000
	v_cndmask_b32_e64 v24, v216, v24, s[98:99]                 // 00000000ED38: D1000018 018A31D8
	v_add_u32_e32 v197, 0x41, v196                             // 00000000ED40: 698B88FF 00000041
	v_cmp_lt_u32_e64 s[98:99], v197, v212                      // 00000000ED48: D0C90062 0003A9C5
	s_nop 0                                                    // 00000000ED50: BF800000
	v_cndmask_b32_e64 v25, v216, v25, s[98:99]                 // 00000000ED54: D1000019 018A33D8
	v_add_u32_e32 v197, 0x42, v196                             // 00000000ED5C: 698B88FF 00000042
	v_cmp_lt_u32_e64 s[98:99], v197, v212                      // 00000000ED64: D0C90062 0003A9C5
	s_nop 0                                                    // 00000000ED6C: BF800000
	v_cndmask_b32_e64 v26, v216, v26, s[98:99]                 // 00000000ED70: D100001A 018A35D8
	v_add_u32_e32 v197, 0x43, v196                             // 00000000ED78: 698B88FF 00000043
	v_cmp_lt_u32_e64 s[98:99], v197, v212                      // 00000000ED80: D0C90062 0003A9C5
	s_nop 0                                                    // 00000000ED88: BF800000
	v_cndmask_b32_e64 v27, v216, v27, s[98:99]                 // 00000000ED8C: D100001B 018A37D8
	v_add_u32_e32 v197, 0x80, v196                             // 00000000ED94: 698B88FF 00000080
	v_cmp_lt_u32_e64 s[98:99], v197, v212                      // 00000000ED9C: D0C90062 0003A9C5
	s_nop 0                                                    // 00000000EDA4: BF800000
	v_cndmask_b32_e64 v28, v216, v28, s[98:99]                 // 00000000EDA8: D100001C 018A39D8
	v_add_u32_e32 v197, 0x81, v196                             // 00000000EDB0: 698B88FF 00000081
	v_cmp_lt_u32_e64 s[98:99], v197, v212                      // 00000000EDB8: D0C90062 0003A9C5
	s_nop 0                                                    // 00000000EDC0: BF800000
	v_cndmask_b32_e64 v29, v216, v29, s[98:99]                 // 00000000EDC4: D100001D 018A3BD8
	v_add_u32_e32 v197, 0x82, v196                             // 00000000EDCC: 698B88FF 00000082
	v_cmp_lt_u32_e64 s[98:99], v197, v212                      // 00000000EDD4: D0C90062 0003A9C5
	s_nop 0                                                    // 00000000EDDC: BF800000
	v_cndmask_b32_e64 v30, v216, v30, s[98:99]                 // 00000000EDE0: D100001E 018A3DD8
	v_add_u32_e32 v197, 0x83, v196                             // 00000000EDE8: 698B88FF 00000083
	v_cmp_lt_u32_e64 s[98:99], v197, v212                      // 00000000EDF0: D0C90062 0003A9C5
	s_nop 0                                                    // 00000000EDF8: BF800000
	v_cndmask_b32_e64 v31, v216, v31, s[98:99]                 // 00000000EDFC: D100001F 018A3FD8
	v_add_u32_e32 v197, 0xc0, v196                             // 00000000EE04: 698B88FF 000000C0
	v_cmp_lt_u32_e64 s[98:99], v197, v212                      // 00000000EE0C: D0C90062 0003A9C5
	s_nop 0                                                    // 00000000EE14: BF800000
	v_cndmask_b32_e64 v32, v216, v32, s[98:99]                 // 00000000EE18: D1000020 018A41D8
	v_add_u32_e32 v197, 0xc1, v196                             // 00000000EE20: 698B88FF 000000C1
	v_cmp_lt_u32_e64 s[98:99], v197, v212                      // 00000000EE28: D0C90062 0003A9C5
	s_nop 0                                                    // 00000000EE30: BF800000
	v_cndmask_b32_e64 v33, v216, v33, s[98:99]                 // 00000000EE34: D1000021 018A43D8
	v_add_u32_e32 v197, 0xc2, v196                             // 00000000EE3C: 698B88FF 000000C2
	v_cmp_lt_u32_e64 s[98:99], v197, v212                      // 00000000EE44: D0C90062 0003A9C5
	s_nop 0                                                    // 00000000EE4C: BF800000
	v_cndmask_b32_e64 v34, v216, v34, s[98:99]                 // 00000000EE50: D1000022 018A45D8
	v_add_u32_e32 v197, 0xc3, v196                             // 00000000EE58: 698B88FF 000000C3
	v_cmp_lt_u32_e64 s[98:99], v197, v212                      // 00000000EE60: D0C90062 0003A9C5
	s_nop 0                                                    // 00000000EE68: BF800000
	v_cndmask_b32_e64 v35, v216, v35, s[98:99]                 // 00000000EE6C: D1000023 018A47D8
	v_add_u32_e32 v197, 0, v196                                // 00000000EE74: 698B8880
	v_cmp_lt_u32_e64 s[98:99], v197, v213                      // 00000000EE78: D0C90062 0003ABC5
	s_nop 0                                                    // 00000000EE80: BF800000
	v_cndmask_b32_e64 v36, v216, v36, s[98:99]                 // 00000000EE84: D1000024 018A49D8
	v_add_u32_e32 v197, 1, v196                                // 00000000EE8C: 698B8881
	v_cmp_lt_u32_e64 s[98:99], v197, v213                      // 00000000EE90: D0C90062 0003ABC5
	s_nop 0                                                    // 00000000EE98: BF800000
	v_cndmask_b32_e64 v37, v216, v37, s[98:99]                 // 00000000EE9C: D1000025 018A4BD8
	v_add_u32_e32 v197, 2, v196                                // 00000000EEA4: 698B8882
	v_cmp_lt_u32_e64 s[98:99], v197, v213                      // 00000000EEA8: D0C90062 0003ABC5
	s_nop 0                                                    // 00000000EEB0: BF800000
	v_cndmask_b32_e64 v38, v216, v38, s[98:99]                 // 00000000EEB4: D1000026 018A4DD8
	v_add_u32_e32 v197, 3, v196                                // 00000000EEBC: 698B8883
	v_cmp_lt_u32_e64 s[98:99], v197, v213                      // 00000000EEC0: D0C90062 0003ABC5
	s_nop 0                                                    // 00000000EEC8: BF800000
	v_cndmask_b32_e64 v39, v216, v39, s[98:99]                 // 00000000EECC: D1000027 018A4FD8
	v_add_u32_e32 v197, 64, v196                               // 00000000EED4: 698B88C0
	v_cmp_lt_u32_e64 s[98:99], v197, v213                      // 00000000EED8: D0C90062 0003ABC5
	s_nop 0                                                    // 00000000EEE0: BF800000
	v_cndmask_b32_e64 v40, v216, v40, s[98:99]                 // 00000000EEE4: D1000028 018A51D8
	v_add_u32_e32 v197, 0x41, v196                             // 00000000EEEC: 698B88FF 00000041
	v_cmp_lt_u32_e64 s[98:99], v197, v213                      // 00000000EEF4: D0C90062 0003ABC5
	s_nop 0                                                    // 00000000EEFC: BF800000
	v_cndmask_b32_e64 v41, v216, v41, s[98:99]                 // 00000000EF00: D1000029 018A53D8
	v_add_u32_e32 v197, 0x42, v196                             // 00000000EF08: 698B88FF 00000042
	v_cmp_lt_u32_e64 s[98:99], v197, v213                      // 00000000EF10: D0C90062 0003ABC5
	s_nop 0                                                    // 00000000EF18: BF800000
	v_cndmask_b32_e64 v42, v216, v42, s[98:99]                 // 00000000EF1C: D100002A 018A55D8
	v_add_u32_e32 v197, 0x43, v196                             // 00000000EF24: 698B88FF 00000043
	v_cmp_lt_u32_e64 s[98:99], v197, v213                      // 00000000EF2C: D0C90062 0003ABC5
	s_nop 0                                                    // 00000000EF34: BF800000
	v_cndmask_b32_e64 v43, v216, v43, s[98:99]                 // 00000000EF38: D100002B 018A57D8
	v_add_u32_e32 v197, 0x80, v196                             // 00000000EF40: 698B88FF 00000080
	v_cmp_lt_u32_e64 s[98:99], v197, v213                      // 00000000EF48: D0C90062 0003ABC5
	s_nop 0                                                    // 00000000EF50: BF800000
	v_cndmask_b32_e64 v44, v216, v44, s[98:99]                 // 00000000EF54: D100002C 018A59D8
	v_add_u32_e32 v197, 0x81, v196                             // 00000000EF5C: 698B88FF 00000081
	v_cmp_lt_u32_e64 s[98:99], v197, v213                      // 00000000EF64: D0C90062 0003ABC5
	s_nop 0                                                    // 00000000EF6C: BF800000
	v_cndmask_b32_e64 v45, v216, v45, s[98:99]                 // 00000000EF70: D100002D 018A5BD8
	v_add_u32_e32 v197, 0x82, v196                             // 00000000EF78: 698B88FF 00000082
	v_cmp_lt_u32_e64 s[98:99], v197, v213                      // 00000000EF80: D0C90062 0003ABC5
	s_nop 0                                                    // 00000000EF88: BF800000
	v_cndmask_b32_e64 v46, v216, v46, s[98:99]                 // 00000000EF8C: D100002E 018A5DD8
	v_add_u32_e32 v197, 0x83, v196                             // 00000000EF94: 698B88FF 00000083
	v_cmp_lt_u32_e64 s[98:99], v197, v213                      // 00000000EF9C: D0C90062 0003ABC5
	s_nop 0                                                    // 00000000EFA4: BF800000
	v_cndmask_b32_e64 v47, v216, v47, s[98:99]                 // 00000000EFA8: D100002F 018A5FD8
	v_add_u32_e32 v197, 0xc0, v196                             // 00000000EFB0: 698B88FF 000000C0
	v_cmp_lt_u32_e64 s[98:99], v197, v213                      // 00000000EFB8: D0C90062 0003ABC5
	s_nop 0                                                    // 00000000EFC0: BF800000
	v_cndmask_b32_e64 v48, v216, v48, s[98:99]                 // 00000000EFC4: D1000030 018A61D8
	v_add_u32_e32 v197, 0xc1, v196                             // 00000000EFCC: 698B88FF 000000C1
	v_cmp_lt_u32_e64 s[98:99], v197, v213                      // 00000000EFD4: D0C90062 0003ABC5
	s_nop 0                                                    // 00000000EFDC: BF800000
	v_cndmask_b32_e64 v49, v216, v49, s[98:99]                 // 00000000EFE0: D1000031 018A63D8
	v_add_u32_e32 v197, 0xc2, v196                             // 00000000EFE8: 698B88FF 000000C2
	v_cmp_lt_u32_e64 s[98:99], v197, v213                      // 00000000EFF0: D0C90062 0003ABC5
	s_nop 0                                                    // 00000000EFF8: BF800000
	v_cndmask_b32_e64 v50, v216, v50, s[98:99]                 // 00000000EFFC: D1000032 018A65D8
	v_add_u32_e32 v197, 0xc3, v196                             // 00000000F004: 698B88FF 000000C3
	v_cmp_lt_u32_e64 s[98:99], v197, v213                      // 00000000F00C: D0C90062 0003ABC5
	s_nop 0                                                    // 00000000F014: BF800000
	v_cndmask_b32_e64 v51, v216, v51, s[98:99]                 // 00000000F018: D1000033 018A67D8
	v_add_u32_e32 v197, 0, v196                                // 00000000F020: 698B8880
	v_cmp_lt_u32_e64 s[98:99], v197, v214                      // 00000000F024: D0C90062 0003ADC5
	s_nop 0                                                    // 00000000F02C: BF800000
	v_cndmask_b32_e64 v52, v216, v52, s[98:99]                 // 00000000F030: D1000034 018A69D8
	v_add_u32_e32 v197, 1, v196                                // 00000000F038: 698B8881
	v_cmp_lt_u32_e64 s[98:99], v197, v214                      // 00000000F03C: D0C90062 0003ADC5
	s_nop 0                                                    // 00000000F044: BF800000
	v_cndmask_b32_e64 v53, v216, v53, s[98:99]                 // 00000000F048: D1000035 018A6BD8
	v_add_u32_e32 v197, 2, v196                                // 00000000F050: 698B8882
	v_cmp_lt_u32_e64 s[98:99], v197, v214                      // 00000000F054: D0C90062 0003ADC5
	s_nop 0                                                    // 00000000F05C: BF800000
	v_cndmask_b32_e64 v54, v216, v54, s[98:99]                 // 00000000F060: D1000036 018A6DD8
	v_add_u32_e32 v197, 3, v196                                // 00000000F068: 698B8883
	v_cmp_lt_u32_e64 s[98:99], v197, v214                      // 00000000F06C: D0C90062 0003ADC5
	s_nop 0                                                    // 00000000F074: BF800000
	v_cndmask_b32_e64 v55, v216, v55, s[98:99]                 // 00000000F078: D1000037 018A6FD8
	v_add_u32_e32 v197, 64, v196                               // 00000000F080: 698B88C0
	v_cmp_lt_u32_e64 s[98:99], v197, v214                      // 00000000F084: D0C90062 0003ADC5
	s_nop 0                                                    // 00000000F08C: BF800000
	v_cndmask_b32_e64 v56, v216, v56, s[98:99]                 // 00000000F090: D1000038 018A71D8
	v_add_u32_e32 v197, 0x41, v196                             // 00000000F098: 698B88FF 00000041
	v_cmp_lt_u32_e64 s[98:99], v197, v214                      // 00000000F0A0: D0C90062 0003ADC5
	s_nop 0                                                    // 00000000F0A8: BF800000
	v_cndmask_b32_e64 v57, v216, v57, s[98:99]                 // 00000000F0AC: D1000039 018A73D8
	v_add_u32_e32 v197, 0x42, v196                             // 00000000F0B4: 698B88FF 00000042
	v_cmp_lt_u32_e64 s[98:99], v197, v214                      // 00000000F0BC: D0C90062 0003ADC5
	s_nop 0                                                    // 00000000F0C4: BF800000
	v_cndmask_b32_e64 v58, v216, v58, s[98:99]                 // 00000000F0C8: D100003A 018A75D8
	v_add_u32_e32 v197, 0x43, v196                             // 00000000F0D0: 698B88FF 00000043
	v_cmp_lt_u32_e64 s[98:99], v197, v214                      // 00000000F0D8: D0C90062 0003ADC5
	s_nop 0                                                    // 00000000F0E0: BF800000
	v_cndmask_b32_e64 v59, v216, v59, s[98:99]                 // 00000000F0E4: D100003B 018A77D8
	v_add_u32_e32 v197, 0x80, v196                             // 00000000F0EC: 698B88FF 00000080
	v_cmp_lt_u32_e64 s[98:99], v197, v214                      // 00000000F0F4: D0C90062 0003ADC5
	s_nop 0                                                    // 00000000F0FC: BF800000
	v_cndmask_b32_e64 v60, v216, v60, s[98:99]                 // 00000000F100: D100003C 018A79D8
	v_add_u32_e32 v197, 0x81, v196                             // 00000000F108: 698B88FF 00000081
	v_cmp_lt_u32_e64 s[98:99], v197, v214                      // 00000000F110: D0C90062 0003ADC5
	s_nop 0                                                    // 00000000F118: BF800000
	v_cndmask_b32_e64 v61, v216, v61, s[98:99]                 // 00000000F11C: D100003D 018A7BD8
	v_add_u32_e32 v197, 0x82, v196                             // 00000000F124: 698B88FF 00000082
	v_cmp_lt_u32_e64 s[98:99], v197, v214                      // 00000000F12C: D0C90062 0003ADC5
	s_nop 0                                                    // 00000000F134: BF800000
	v_cndmask_b32_e64 v62, v216, v62, s[98:99]                 // 00000000F138: D100003E 018A7DD8
	v_add_u32_e32 v197, 0x83, v196                             // 00000000F140: 698B88FF 00000083
	v_cmp_lt_u32_e64 s[98:99], v197, v214                      // 00000000F148: D0C90062 0003ADC5
	s_nop 0                                                    // 00000000F150: BF800000
	v_cndmask_b32_e64 v63, v216, v63, s[98:99]                 // 00000000F154: D100003F 018A7FD8
	v_add_u32_e32 v197, 0xc0, v196                             // 00000000F15C: 698B88FF 000000C0
	v_cmp_lt_u32_e64 s[98:99], v197, v214                      // 00000000F164: D0C90062 0003ADC5
	s_nop 0                                                    // 00000000F16C: BF800000
	v_cndmask_b32_e64 v64, v216, v64, s[98:99]                 // 00000000F170: D1000040 018A81D8
	v_add_u32_e32 v197, 0xc1, v196                             // 00000000F178: 698B88FF 000000C1
	v_cmp_lt_u32_e64 s[98:99], v197, v214                      // 00000000F180: D0C90062 0003ADC5
	s_nop 0                                                    // 00000000F188: BF800000
	v_cndmask_b32_e64 v65, v216, v65, s[98:99]                 // 00000000F18C: D1000041 018A83D8
	v_add_u32_e32 v197, 0xc2, v196                             // 00000000F194: 698B88FF 000000C2
	v_cmp_lt_u32_e64 s[98:99], v197, v214                      // 00000000F19C: D0C90062 0003ADC5
	s_nop 0                                                    // 00000000F1A4: BF800000
	v_cndmask_b32_e64 v66, v216, v66, s[98:99]                 // 00000000F1A8: D1000042 018A85D8
	v_add_u32_e32 v197, 0xc3, v196                             // 00000000F1B0: 698B88FF 000000C3
	v_cmp_lt_u32_e64 s[98:99], v197, v214                      // 00000000F1B8: D0C90062 0003ADC5
	s_nop 0                                                    // 00000000F1C0: BF800000
	v_cndmask_b32_e64 v67, v216, v67, s[98:99]                 // 00000000F1C4: D1000043 018A87D8
	v_mov_b32_e32 v176, v4                                     // 00000000F1CC: 7F600304
	v_max3_f32 v176, v4, v5, v176                              // 00000000F1D0: D1D300B0 06C20B04
	v_max3_f32 v176, v6, v7, v176                              // 00000000F1D8: D1D300B0 06C20F06
	v_max3_f32 v176, v8, v9, v176                              // 00000000F1E0: D1D300B0 06C21308
	v_max3_f32 v176, v10, v11, v176                            // 00000000F1E8: D1D300B0 06C2170A
	v_max3_f32 v176, v12, v13, v176                            // 00000000F1F0: D1D300B0 06C21B0C
	v_max3_f32 v176, v14, v15, v176                            // 00000000F1F8: D1D300B0 06C21F0E
	v_max3_f32 v176, v16, v17, v176                            // 00000000F200: D1D300B0 06C22310
	v_max3_f32 v176, v18, v19, v176                            // 00000000F208: D1D300B0 06C22712
	v_mov_b32_e32 v177, v20                                    // 00000000F210: 7F620314
	v_max3_f32 v177, v20, v21, v177                            // 00000000F214: D1D300B1 06C62B14
	v_max3_f32 v177, v22, v23, v177                            // 00000000F21C: D1D300B1 06C62F16
	v_max3_f32 v177, v24, v25, v177                            // 00000000F224: D1D300B1 06C63318
	v_max3_f32 v177, v26, v27, v177                            // 00000000F22C: D1D300B1 06C6371A
	v_max3_f32 v177, v28, v29, v177                            // 00000000F234: D1D300B1 06C63B1C
	v_max3_f32 v177, v30, v31, v177                            // 00000000F23C: D1D300B1 06C63F1E
	v_max3_f32 v177, v32, v33, v177                            // 00000000F244: D1D300B1 06C64320
	v_max3_f32 v177, v34, v35, v177                            // 00000000F24C: D1D300B1 06C64722
	v_mov_b32_e32 v178, v36                                    // 00000000F254: 7F640324
	v_max3_f32 v178, v36, v37, v178                            // 00000000F258: D1D300B2 06CA4B24
	v_max3_f32 v178, v38, v39, v178                            // 00000000F260: D1D300B2 06CA4F26
	v_max3_f32 v178, v40, v41, v178                            // 00000000F268: D1D300B2 06CA5328
	v_max3_f32 v178, v42, v43, v178                            // 00000000F270: D1D300B2 06CA572A
	v_max3_f32 v178, v44, v45, v178                            // 00000000F278: D1D300B2 06CA5B2C
	v_max3_f32 v178, v46, v47, v178                            // 00000000F280: D1D300B2 06CA5F2E
	v_max3_f32 v178, v48, v49, v178                            // 00000000F288: D1D300B2 06CA6330
	v_max3_f32 v178, v50, v51, v178                            // 00000000F290: D1D300B2 06CA6732
	v_mov_b32_e32 v179, v52                                    // 00000000F298: 7F660334
	v_max3_f32 v179, v52, v53, v179                            // 00000000F29C: D1D300B3 06CE6B34
	v_max3_f32 v179, v54, v55, v179                            // 00000000F2A4: D1D300B3 06CE6F36
	v_max3_f32 v179, v56, v57, v179                            // 00000000F2AC: D1D300B3 06CE7338
	v_max3_f32 v179, v58, v59, v179                            // 00000000F2B4: D1D300B3 06CE773A
	v_max3_f32 v179, v60, v61, v179                            // 00000000F2BC: D1D300B3 06CE7B3C
	v_max3_f32 v179, v62, v63, v179                            // 00000000F2C4: D1D300B3 06CE7F3E
	v_max3_f32 v179, v64, v65, v179                            // 00000000F2CC: D1D300B3 06CE8340
	v_max3_f32 v179, v66, v67, v179                            // 00000000F2D4: D1D300B3 06CE8742
	ds_bpermute_b32 v180, v200, v176                           // 00000000F2DC: D87E0000 B400B0C8
	ds_bpermute_b32 v181, v201, v176                           // 00000000F2E4: D87E0000 B500B0C9
	ds_bpermute_b32 v182, v202, v176                           // 00000000F2EC: D87E0000 B600B0CA
	ds_bpermute_b32 v183, v200, v177                           // 00000000F2F4: D87E0000 B700B1C8
	ds_bpermute_b32 v184, v201, v177                           // 00000000F2FC: D87E0000 B800B1C9
	ds_bpermute_b32 v185, v202, v177                           // 00000000F304: D87E0000 B900B1CA
	ds_bpermute_b32 v186, v200, v178                           // 00000000F30C: D87E0000 BA00B2C8
	ds_bpermute_b32 v187, v201, v178                           // 00000000F314: D87E0000 BB00B2C9
	ds_bpermute_b32 v188, v202, v178                           // 00000000F31C: D87E0000 BC00B2CA
	ds_bpermute_b32 v189, v200, v179                           // 00000000F324: D87E0000 BD00B3C8
	ds_bpermute_b32 v190, v201, v179                           // 00000000F32C: D87E0000 BE00B3C9
	ds_bpermute_b32 v191, v202, v179                           // 00000000F334: D87E0000 BF00B3CA
	v_pk_mul_f32 v[100:101], v[160:161], v[100:101]            // 00000000F33C: D3B14064 1802C9A0
	v_pk_mul_f32 v[102:103], v[160:161], v[102:103]            // 00000000F344: D3B14066 1802CDA0
	v_pk_mul_f32 v[104:105], v[160:161], v[104:105]            // 00000000F34C: D3B14068 1802D1A0
	v_pk_mul_f32 v[106:107], v[160:161], v[106:107]            // 00000000F354: D3B1406A 1802D5A0
	v_pk_mul_f32 v[108:109], v[162:163], v[108:109]            // 00000000F35C: D3B1406C 1802D9A2
	v_pk_mul_f32 v[110:111], v[162:163], v[110:111]            // 00000000F364: D3B1406E 1802DDA2
	v_pk_mul_f32 v[112:113], v[162:163], v[112:113]            // 00000000F36C: D3B14070 1802E1A2
	v_pk_mul_f32 v[114:115], v[162:163], v[114:115]            // 00000000F374: D3B14072 1802E5A2
	v_pk_mul_f32 v[116:117], v[164:165], v[116:117]            // 00000000F37C: D3B14074 1802E9A4
	v_pk_mul_f32 v[118:119], v[164:165], v[118:119]            // 00000000F384: D3B14076 1802EDA4
	v_pk_mul_f32 v[120:121], v[164:165], v[120:121]            // 00000000F38C: D3B14078 1802F1A4
	v_pk_mul_f32 v[122:123], v[164:165], v[122:123]            // 00000000F394: D3B1407A 1802F5A4
	v_pk_mul_f32 v[124:125], v[166:167], v[124:125]            // 00000000F39C: D3B1407C 1802F9A6
	v_pk_mul_f32 v[126:127], v[166:167], v[126:127]            // 00000000F3A4: D3B1407E 1802FDA6
	v_pk_mul_f32 v[128:129], v[166:167], v[128:129]            // 00000000F3AC: D3B14080 180301A6
	v_pk_mul_f32 v[130:131], v[166:167], v[130:131]            // 00000000F3B4: D3B14082 180305A6
	s_waitcnt lgkmcnt(9)                                       // 00000000F3BC: BF8CC97F
	v_max3_f32 v176, v180, v181, v176                          // 00000000F3C0: D1D300B0 06C36BB4
	v_max_f32_e32 v176, v182, v176                             // 00000000F3C8: 176161B6
	s_waitcnt lgkmcnt(6)                                       // 00000000F3CC: BF8CC67F
	v_max3_f32 v177, v183, v184, v177                          // 00000000F3D0: D1D300B1 06C771B7
	v_max_f32_e32 v177, v185, v177                             // 00000000F3D8: 176363B9
	s_waitcnt lgkmcnt(3)                                       // 00000000F3DC: BF8CC37F
	v_max3_f32 v178, v186, v187, v178                          // 00000000F3E0: D1D300B2 06CB77BA
	v_max_f32_e32 v178, v188, v178                             // 00000000F3E8: 176565BC
	s_waitcnt lgkmcnt(0)                                       // 00000000F3EC: BF8CC07F
	v_max3_f32 v179, v189, v190, v179                          // 00000000F3F0: D1D300B3 06CF7DBD
	v_max_f32_e32 v179, v191, v179                             // 00000000F3F8: 176767BF
	ds_write_b128 v247, v[176:179]                             // 00000000F3FC: D9BE0000 0000B0F7
	s_waitcnt lgkmcnt(0)                                       // 00000000F404: BF8CC07F
	s_barrier                                                  // 00000000F408: BF8A0000
	ds_read_b128 v[180:183], v248                              // 00000000F40C: D9FE0000 B40000F8
	ds_read_b128 v[184:187], v248 offset:256                   // 00000000F414: D9FE0100 B80000F8
	ds_read_b128 v[188:191], v248 offset:512                   // 00000000F41C: D9FE0200 BC0000F8
	ds_read_b128 v[192:195], v248 offset:768                   // 00000000F424: D9FE0300 C00000F8
	v_pk_mul_f32 v[68:69], v[144:145], v[68:69]                // 00000000F42C: D3B14044 18028990
	v_pk_mul_f32 v[70:71], v[144:145], v[70:71]                // 00000000F434: D3B14046 18028D90
	v_pk_mul_f32 v[72:73], v[144:145], v[72:73]                // 00000000F43C: D3B14048 18029190
	v_pk_mul_f32 v[74:75], v[144:145], v[74:75]                // 00000000F444: D3B1404A 18029590
	v_pk_mul_f32 v[76:77], v[146:147], v[76:77]                // 00000000F44C: D3B1404C 18029992
	v_pk_mul_f32 v[78:79], v[146:147], v[78:79]                // 00000000F454: D3B1404E 18029D92
	v_pk_mul_f32 v[80:81], v[146:147], v[80:81]                // 00000000F45C: D3B14050 1802A192
	v_pk_mul_f32 v[82:83], v[146:147], v[82:83]                // 00000000F464: D3B14052 1802A592
	v_pk_mul_f32 v[84:85], v[148:149], v[84:85]                // 00000000F46C: D3B14054 1802A994
	v_pk_mul_f32 v[86:87], v[148:149], v[86:87]                // 00000000F474: D3B14056 1802AD94
	v_pk_mul_f32 v[88:89], v[148:149], v[88:89]                // 00000000F47C: D3B14058 1802B194
	v_pk_mul_f32 v[90:91], v[148:149], v[90:91]                // 00000000F484: D3B1405A 1802B594
	v_pk_mul_f32 v[92:93], v[150:151], v[92:93]                // 00000000F48C: D3B1405C 1802B996
	v_pk_mul_f32 v[94:95], v[150:151], v[94:95]                // 00000000F494: D3B1405E 1802BD96
	v_pk_mul_f32 v[96:97], v[150:151], v[96:97]                // 00000000F49C: D3B14060 1802C196
	v_pk_mul_f32 v[98:99], v[150:151], v[98:99]                // 00000000F4A4: D3B14062 1802C596
	s_waitcnt lgkmcnt(0)                                       // 00000000F4AC: BF8CC07F
	v_max3_f32 v176, v180, v184, v176                          // 00000000F4B0: D1D300B0 06C371B4
	v_max3_f32 v177, v181, v185, v177                          // 00000000F4B8: D1D300B1 06C773B5
	v_max3_f32 v178, v182, v186, v178                          // 00000000F4C0: D1D300B2 06CB75B6
	v_max3_f32 v179, v183, v187, v179                          // 00000000F4C8: D1D300B3 06CF77B7
	v_max3_f32 v176, v188, v192, v176                          // 00000000F4D0: D1D300B0 06C381BC
	v_max3_f32 v177, v189, v193, v177                          // 00000000F4D8: D1D300B1 06C783BD
	v_max3_f32 v178, v190, v194, v178                          // 00000000F4E0: D1D300B2 06CB85BE
	v_max3_f32 v179, v191, v195, v179                          // 00000000F4E8: D1D300B3 06CF87BF
	v_max_f32_e32 v156, v176, v152                             // 00000000F4F0: 173931B0
	v_mul_f32_e64 v196, -s46, v156                             // 00000000F4F4: D10500C4 2003382E
	v_mov_b32_e32 v197, v196                                   // 00000000F4FC: 7F8A03C4
	v_pk_fma_f32 v[4:5], v[4:5], s[46:47], v[196:197]          // 00000000F500: D3B04004 1F105D04
	v_pk_fma_f32 v[6:7], v[6:7], s[46:47], v[196:197]          // 00000000F508: D3B04006 1F105D06
	v_exp_f32_e32 v4, v4                                       // 00000000F510: 7E084104
	v_exp_f32_e32 v5, v5                                       // 00000000F514: 7E0A4105
	v_exp_f32_e32 v6, v6                                       // 00000000F518: 7E0C4106
	v_exp_f32_e32 v7, v7                                       // 00000000F51C: 7E0E4107
	v_pk_fma_f32 v[8:9], v[8:9], s[46:47], v[196:197]          // 00000000F520: D3B04008 1F105D08
	v_pk_fma_f32 v[10:11], v[10:11], s[46:47], v[196:197]      // 00000000F528: D3B0400A 1F105D0A
	v_exp_f32_e32 v8, v8                                       // 00000000F530: 7E104108
	v_exp_f32_e32 v9, v9                                       // 00000000F534: 7E124109
	v_exp_f32_e32 v10, v10                                     // 00000000F538: 7E14410A
	v_exp_f32_e32 v11, v11                                     // 00000000F53C: 7E16410B
	v_pk_fma_f32 v[12:13], v[12:13], s[46:47], v[196:197]      // 00000000F540: D3B0400C 1F105D0C
	v_pk_fma_f32 v[14:15], v[14:15], s[46:47], v[196:197]      // 00000000F548: D3B0400E 1F105D0E
	v_exp_f32_e32 v12, v12                                     // 00000000F550: 7E18410C
	v_exp_f32_e32 v13, v13                                     // 00000000F554: 7E1A410D
	v_exp_f32_e32 v14, v14                                     // 00000000F558: 7E1C410E
	v_exp_f32_e32 v15, v15                                     // 00000000F55C: 7E1E410F
	v_pk_fma_f32 v[16:17], v[16:17], s[46:47], v[196:197]      // 00000000F560: D3B04010 1F105D10
	v_pk_fma_f32 v[18:19], v[18:19], s[46:47], v[196:197]      // 00000000F568: D3B04012 1F105D12
	v_exp_f32_e32 v16, v16                                     // 00000000F570: 7E204110
	v_exp_f32_e32 v17, v17                                     // 00000000F574: 7E224111
	v_exp_f32_e32 v18, v18                                     // 00000000F578: 7E244112
	v_exp_f32_e32 v19, v19                                     // 00000000F57C: 7E264113
	v_max_f32_e32 v157, v177, v153                             // 00000000F580: 173B33B1
	v_mul_f32_e64 v196, -s46, v157                             // 00000000F584: D10500C4 20033A2E
	v_mov_b32_e32 v197, v196                                   // 00000000F58C: 7F8A03C4
	v_pk_fma_f32 v[20:21], v[20:21], s[46:47], v[196:197]      // 00000000F590: D3B04014 1F105D14
	v_pk_fma_f32 v[22:23], v[22:23], s[46:47], v[196:197]      // 00000000F598: D3B04016 1F105D16
	v_exp_f32_e32 v20, v20                                     // 00000000F5A0: 7E284114
	v_exp_f32_e32 v21, v21                                     // 00000000F5A4: 7E2A4115
	v_exp_f32_e32 v22, v22                                     // 00000000F5A8: 7E2C4116
	v_exp_f32_e32 v23, v23                                     // 00000000F5AC: 7E2E4117
	v_pk_fma_f32 v[24:25], v[24:25], s[46:47], v[196:197]      // 00000000F5B0: D3B04018 1F105D18
	v_pk_fma_f32 v[26:27], v[26:27], s[46:47], v[196:197]      // 00000000F5B8: D3B0401A 1F105D1A
	v_exp_f32_e32 v24, v24                                     // 00000000F5C0: 7E304118
	v_exp_f32_e32 v25, v25                                     // 00000000F5C4: 7E324119
	v_exp_f32_e32 v26, v26                                     // 00000000F5C8: 7E34411A
	v_exp_f32_e32 v27, v27                                     // 00000000F5CC: 7E36411B
	v_pk_fma_f32 v[28:29], v[28:29], s[46:47], v[196:197]      // 00000000F5D0: D3B0401C 1F105D1C
	v_pk_fma_f32 v[30:31], v[30:31], s[46:47], v[196:197]      // 00000000F5D8: D3B0401E 1F105D1E
	v_exp_f32_e32 v28, v28                                     // 00000000F5E0: 7E38411C
	v_exp_f32_e32 v29, v29                                     // 00000000F5E4: 7E3A411D
	v_exp_f32_e32 v30, v30                                     // 00000000F5E8: 7E3C411E
	v_exp_f32_e32 v31, v31                                     // 00000000F5EC: 7E3E411F
	v_pk_fma_f32 v[32:33], v[32:33], s[46:47], v[196:197]      // 00000000F5F0: D3B04020 1F105D20
	v_pk_fma_f32 v[34:35], v[34:35], s[46:47], v[196:197]      // 00000000F5F8: D3B04022 1F105D22
	v_exp_f32_e32 v32, v32                                     // 00000000F600: 7E404120
	v_exp_f32_e32 v33, v33                                     // 00000000F604: 7E424121
	v_exp_f32_e32 v34, v34                                     // 00000000F608: 7E444122
	v_exp_f32_e32 v35, v35                                     // 00000000F60C: 7E464123
	v_max_f32_e32 v158, v178, v154                             // 00000000F610: 173D35B2
	v_mul_f32_e64 v196, -s46, v158                             // 00000000F614: D10500C4 20033C2E
	v_mov_b32_e32 v197, v196                                   // 00000000F61C: 7F8A03C4
	v_pk_fma_f32 v[36:37], v[36:37], s[46:47], v[196:197]      // 00000000F620: D3B04024 1F105D24
	v_pk_fma_f32 v[38:39], v[38:39], s[46:47], v[196:197]      // 00000000F628: D3B04026 1F105D26
	v_exp_f32_e32 v36, v36                                     // 00000000F630: 7E484124
	v_exp_f32_e32 v37, v37                                     // 00000000F634: 7E4A4125
	v_exp_f32_e32 v38, v38                                     // 00000000F638: 7E4C4126
	v_exp_f32_e32 v39, v39                                     // 00000000F63C: 7E4E4127
	v_pk_fma_f32 v[40:41], v[40:41], s[46:47], v[196:197]      // 00000000F640: D3B04028 1F105D28
	v_pk_fma_f32 v[42:43], v[42:43], s[46:47], v[196:197]      // 00000000F648: D3B0402A 1F105D2A
	v_exp_f32_e32 v40, v40                                     // 00000000F650: 7E504128
	v_exp_f32_e32 v41, v41                                     // 00000000F654: 7E524129
	v_exp_f32_e32 v42, v42                                     // 00000000F658: 7E54412A
	v_exp_f32_e32 v43, v43                                     // 00000000F65C: 7E56412B
	v_pk_fma_f32 v[44:45], v[44:45], s[46:47], v[196:197]      // 00000000F660: D3B0402C 1F105D2C
	v_pk_fma_f32 v[46:47], v[46:47], s[46:47], v[196:197]      // 00000000F668: D3B0402E 1F105D2E
	v_exp_f32_e32 v44, v44                                     // 00000000F670: 7E58412C
	v_exp_f32_e32 v45, v45                                     // 00000000F674: 7E5A412D
	v_exp_f32_e32 v46, v46                                     // 00000000F678: 7E5C412E
	v_exp_f32_e32 v47, v47                                     // 00000000F67C: 7E5E412F
	v_pk_fma_f32 v[48:49], v[48:49], s[46:47], v[196:197]      // 00000000F680: D3B04030 1F105D30
	v_pk_fma_f32 v[50:51], v[50:51], s[46:47], v[196:197]      // 00000000F688: D3B04032 1F105D32
	v_exp_f32_e32 v48, v48                                     // 00000000F690: 7E604130
	v_exp_f32_e32 v49, v49                                     // 00000000F694: 7E624131
	v_exp_f32_e32 v50, v50                                     // 00000000F698: 7E644132
	v_exp_f32_e32 v51, v51                                     // 00000000F69C: 7E664133
	v_max_f32_e32 v159, v179, v155                             // 00000000F6A0: 173F37B3
	v_mul_f32_e64 v196, -s46, v159                             // 00000000F6A4: D10500C4 20033E2E
	v_mov_b32_e32 v197, v196                                   // 00000000F6AC: 7F8A03C4
	v_pk_fma_f32 v[52:53], v[52:53], s[46:47], v[196:197]      // 00000000F6B0: D3B04034 1F105D34
	v_pk_fma_f32 v[54:55], v[54:55], s[46:47], v[196:197]      // 00000000F6B8: D3B04036 1F105D36
	v_exp_f32_e32 v52, v52                                     // 00000000F6C0: 7E684134
	v_exp_f32_e32 v53, v53                                     // 00000000F6C4: 7E6A4135
	v_exp_f32_e32 v54, v54                                     // 00000000F6C8: 7E6C4136
	v_exp_f32_e32 v55, v55                                     // 00000000F6CC: 7E6E4137
	v_pk_fma_f32 v[56:57], v[56:57], s[46:47], v[196:197]      // 00000000F6D0: D3B04038 1F105D38
	v_pk_fma_f32 v[58:59], v[58:59], s[46:47], v[196:197]      // 00000000F6D8: D3B0403A 1F105D3A
	v_exp_f32_e32 v56, v56                                     // 00000000F6E0: 7E704138
	v_exp_f32_e32 v57, v57                                     // 00000000F6E4: 7E724139
	v_exp_f32_e32 v58, v58                                     // 00000000F6E8: 7E74413A
	v_exp_f32_e32 v59, v59                                     // 00000000F6EC: 7E76413B
	v_pk_fma_f32 v[60:61], v[60:61], s[46:47], v[196:197]      // 00000000F6F0: D3B0403C 1F105D3C
	v_pk_fma_f32 v[62:63], v[62:63], s[46:47], v[196:197]      // 00000000F6F8: D3B0403E 1F105D3E
	v_exp_f32_e32 v60, v60                                     // 00000000F700: 7E78413C
	v_exp_f32_e32 v61, v61                                     // 00000000F704: 7E7A413D
	v_exp_f32_e32 v62, v62                                     // 00000000F708: 7E7C413E
	v_exp_f32_e32 v63, v63                                     // 00000000F70C: 7E7E413F
	v_pk_fma_f32 v[64:65], v[64:65], s[46:47], v[196:197]      // 00000000F710: D3B04040 1F105D40
	v_pk_fma_f32 v[66:67], v[66:67], s[46:47], v[196:197]      // 00000000F718: D3B04042 1F105D42
	v_exp_f32_e32 v64, v64                                     // 00000000F720: 7E804140
	v_exp_f32_e32 v65, v65                                     // 00000000F724: 7E824141
	v_exp_f32_e32 v66, v66                                     // 00000000F728: 7E844142
	v_exp_f32_e32 v67, v67                                     // 00000000F72C: 7E864143
	v_sub_f32_e32 v160, v152, v156                             // 00000000F730: 05413998
	v_cmp_eq_u32_e64 s[98:99], v216, v152                      // 00000000F734: D0CA0062 000331D8
	v_cndmask_b32_e64 v160, v160, 0, s[98:99]                  // 00000000F73C: D10000A0 018901A0
	v_mov_b32_e32 v152, v156                                   // 00000000F744: 7F30039C
	v_mul_f32_e32 v160, s46, v160                              // 00000000F748: 0B41402E
	v_exp_f32_e32 v160, v160                                   // 00000000F74C: 7F4041A0
	v_sub_f32_e32 v162, v153, v157                             // 00000000F750: 05453B99
	v_cmp_eq_u32_e64 s[98:99], v216, v153                      // 00000000F754: D0CA0062 000333D8
	v_cndmask_b32_e64 v162, v162, 0, s[98:99]                  // 00000000F75C: D10000A2 018901A2
	v_mov_b32_e32 v153, v157                                   // 00000000F764: 7F32039D
	v_mul_f32_e32 v162, s46, v162                              // 00000000F768: 0B45442E
	v_exp_f32_e32 v162, v162                                   // 00000000F76C: 7F4441A2
	v_sub_f32_e32 v164, v154, v158                             // 00000000F770: 05493D9A
	v_cmp_eq_u32_e64 s[98:99], v216, v154                      // 00000000F774: D0CA0062 000335D8
	v_cndmask_b32_e64 v164, v164, 0, s[98:99]                  // 00000000F77C: D10000A4 018901A4
	v_mov_b32_e32 v154, v158                                   // 00000000F784: 7F34039E
	v_mul_f32_e32 v164, s46, v164                              // 00000000F788: 0B49482E
	v_exp_f32_e32 v164, v164                                   // 00000000F78C: 7F4841A4
	v_sub_f32_e32 v166, v155, v159                             // 00000000F790: 054D3F9B
	v_cmp_eq_u32_e64 s[98:99], v216, v155                      // 00000000F794: D0CA0062 000337D8
	v_cndmask_b32_e64 v166, v166, 0, s[98:99]                  // 00000000F79C: D10000A6 018901A6
	v_mov_b32_e32 v155, v159                                   // 00000000F7A4: 7F36039F
	v_mul_f32_e32 v166, s46, v166                              // 00000000F7A8: 0B4D4C2E
	v_exp_f32_e32 v166, v166                                   // 00000000F7AC: 7F4C41A6
	v_mov_b32_e32 v161, v160                                   // 00000000F7B0: 7F4203A0
	v_mov_b32_e32 v163, v162                                   // 00000000F7B4: 7F4603A2
	v_mov_b32_e32 v165, v164                                   // 00000000F7B8: 7F4A03A4
	v_mov_b32_e32 v167, v166                                   // 00000000F7BC: 7F4E03A6
	v_mul_f32_e32 v168, v160, v168                             // 00000000F7C0: 0B5151A0
	v_mov_b32_e32 v169, 0                                      // 00000000F7C4: 7F520280
	v_pk_add_f32 v[168:169], v[4:5], v[168:169]                // 00000000F7C8: D3B240A8 18035104
	v_pk_add_f32 v[168:169], v[6:7], v[168:169]                // 00000000F7D0: D3B240A8 18035106
	v_pk_add_f32 v[168:169], v[8:9], v[168:169]                // 00000000F7D8: D3B240A8 18035108
	v_pk_add_f32 v[168:169], v[10:11], v[168:169]              // 00000000F7E0: D3B240A8 1803510A
	v_pk_add_f32 v[168:169], v[12:13], v[168:169]              // 00000000F7E8: D3B240A8 1803510C
	v_pk_add_f32 v[168:169], v[14:15], v[168:169]              // 00000000F7F0: D3B240A8 1803510E
	v_pk_add_f32 v[168:169], v[16:17], v[168:169]              // 00000000F7F8: D3B240A8 18035110
	v_pk_add_f32 v[168:169], v[18:19], v[168:169]              // 00000000F800: D3B240A8 18035112
	v_add_f32_e32 v168, v169, v168                             // 00000000F808: 035151A9
	v_mul_f32_e32 v170, v162, v170                             // 00000000F80C: 0B5555A2
	v_mov_b32_e32 v171, 0                                      // 00000000F810: 7F560280
	v_pk_add_f32 v[170:171], v[20:21], v[170:171]              // 00000000F814: D3B240AA 18035514
	v_pk_add_f32 v[170:171], v[22:23], v[170:171]              // 00000000F81C: D3B240AA 18035516
	v_pk_add_f32 v[170:171], v[24:25], v[170:171]              // 00000000F824: D3B240AA 18035518
	v_pk_add_f32 v[170:171], v[26:27], v[170:171]              // 00000000F82C: D3B240AA 1803551A
	v_pk_add_f32 v[170:171], v[28:29], v[170:171]              // 00000000F834: D3B240AA 1803551C
	v_pk_add_f32 v[170:171], v[30:31], v[170:171]              // 00000000F83C: D3B240AA 1803551E
	v_pk_add_f32 v[170:171], v[32:33], v[170:171]              // 00000000F844: D3B240AA 18035520
	v_pk_add_f32 v[170:171], v[34:35], v[170:171]              // 00000000F84C: D3B240AA 18035522
	v_add_f32_e32 v170, v171, v170                             // 00000000F854: 035555AB
	v_mul_f32_e32 v172, v164, v172                             // 00000000F858: 0B5959A4
	v_mov_b32_e32 v173, 0                                      // 00000000F85C: 7F5A0280
	v_pk_add_f32 v[172:173], v[36:37], v[172:173]              // 00000000F860: D3B240AC 18035924
	v_pk_add_f32 v[172:173], v[38:39], v[172:173]              // 00000000F868: D3B240AC 18035926
	v_pk_add_f32 v[172:173], v[40:41], v[172:173]              // 00000000F870: D3B240AC 18035928
	v_pk_add_f32 v[172:173], v[42:43], v[172:173]              // 00000000F878: D3B240AC 1803592A
	v_pk_add_f32 v[172:173], v[44:45], v[172:173]              // 00000000F880: D3B240AC 1803592C
	v_pk_add_f32 v[172:173], v[46:47], v[172:173]              // 00000000F888: D3B240AC 1803592E
	v_pk_add_f32 v[172:173], v[48:49], v[172:173]              // 00000000F890: D3B240AC 18035930
	v_pk_add_f32 v[172:173], v[50:51], v[172:173]              // 00000000F898: D3B240AC 18035932
	v_add_f32_e32 v172, v173, v172                             // 00000000F8A0: 035959AD
	v_mul_f32_e32 v174, v166, v174                             // 00000000F8A4: 0B5D5DA6
	v_mov_b32_e32 v175, 0                                      // 00000000F8A8: 7F5E0280
	v_pk_add_f32 v[174:175], v[52:53], v[174:175]              // 00000000F8AC: D3B240AE 18035D34
	v_pk_add_f32 v[174:175], v[54:55], v[174:175]              // 00000000F8B4: D3B240AE 18035D36
	v_pk_add_f32 v[174:175], v[56:57], v[174:175]              // 00000000F8BC: D3B240AE 18035D38
	v_pk_add_f32 v[174:175], v[58:59], v[174:175]              // 00000000F8C4: D3B240AE 18035D3A
	v_pk_add_f32 v[174:175], v[60:61], v[174:175]              // 00000000F8CC: D3B240AE 18035D3C
	v_pk_add_f32 v[174:175], v[62:63], v[174:175]              // 00000000F8D4: D3B240AE 18035D3E
	v_pk_add_f32 v[174:175], v[64:65], v[174:175]              // 00000000F8DC: D3B240AE 18035D40
	v_pk_add_f32 v[174:175], v[66:67], v[174:175]              // 00000000F8E4: D3B240AE 18035D42
	v_add_f32_e32 v174, v175, v174                             // 00000000F8EC: 035D5DAF
	v_mul_f32_dpp v4, v142, v4 row_newbcast:0 row_mask:0xf bank_mask:0xf// 00000000F8F0: 0A0808FA FF01508E
	v_mul_f32_dpp v5, v142, v5 row_newbcast:1 row_mask:0xf bank_mask:0xf// 00000000F8F8: 0A0A0AFA FF01518E
	v_mul_f32_dpp v6, v142, v6 row_newbcast:2 row_mask:0xf bank_mask:0xf// 00000000F900: 0A0C0CFA FF01528E
	v_mul_f32_dpp v7, v142, v7 row_newbcast:3 row_mask:0xf bank_mask:0xf// 00000000F908: 0A0E0EFA FF01538E
	v_mul_f32_dpp v8, v142, v8 row_newbcast:4 row_mask:0xf bank_mask:0xf// 00000000F910: 0A1010FA FF01548E
	v_mul_f32_dpp v9, v142, v9 row_newbcast:5 row_mask:0xf bank_mask:0xf// 00000000F918: 0A1212FA FF01558E
	v_mul_f32_dpp v10, v142, v10 row_newbcast:6 row_mask:0xf bank_mask:0xf// 00000000F920: 0A1414FA FF01568E
	v_mul_f32_dpp v11, v142, v11 row_newbcast:7 row_mask:0xf bank_mask:0xf// 00000000F928: 0A1616FA FF01578E
	v_mul_f32_dpp v12, v142, v12 row_newbcast:8 row_mask:0xf bank_mask:0xf// 00000000F930: 0A1818FA FF01588E
	v_mul_f32_dpp v13, v142, v13 row_newbcast:9 row_mask:0xf bank_mask:0xf// 00000000F938: 0A1A1AFA FF01598E
	v_mul_f32_dpp v14, v142, v14 row_newbcast:10 row_mask:0xf bank_mask:0xf// 00000000F940: 0A1C1CFA FF015A8E
	v_mul_f32_dpp v15, v142, v15 row_newbcast:11 row_mask:0xf bank_mask:0xf// 00000000F948: 0A1E1EFA FF015B8E
	v_mul_f32_dpp v16, v142, v16 row_newbcast:12 row_mask:0xf bank_mask:0xf// 00000000F950: 0A2020FA FF015C8E
	v_mul_f32_dpp v17, v142, v17 row_newbcast:13 row_mask:0xf bank_mask:0xf// 00000000F958: 0A2222FA FF015D8E
	v_mul_f32_dpp v18, v142, v18 row_newbcast:14 row_mask:0xf bank_mask:0xf// 00000000F960: 0A2424FA FF015E8E
	v_mul_f32_dpp v19, v142, v19 row_newbcast:15 row_mask:0xf bank_mask:0xf// 00000000F968: 0A2626FA FF015F8E
	v_mul_f32_dpp v20, v142, v20 row_newbcast:0 row_mask:0xf bank_mask:0xf// 00000000F970: 0A2828FA FF01508E
	v_mul_f32_dpp v21, v142, v21 row_newbcast:1 row_mask:0xf bank_mask:0xf// 00000000F978: 0A2A2AFA FF01518E
	v_mul_f32_dpp v22, v142, v22 row_newbcast:2 row_mask:0xf bank_mask:0xf// 00000000F980: 0A2C2CFA FF01528E
	v_mul_f32_dpp v23, v142, v23 row_newbcast:3 row_mask:0xf bank_mask:0xf// 00000000F988: 0A2E2EFA FF01538E
	v_mul_f32_dpp v24, v142, v24 row_newbcast:4 row_mask:0xf bank_mask:0xf// 00000000F990: 0A3030FA FF01548E
	v_mul_f32_dpp v25, v142, v25 row_newbcast:5 row_mask:0xf bank_mask:0xf// 00000000F998: 0A3232FA FF01558E
	v_mul_f32_dpp v26, v142, v26 row_newbcast:6 row_mask:0xf bank_mask:0xf// 00000000F9A0: 0A3434FA FF01568E
	v_mul_f32_dpp v27, v142, v27 row_newbcast:7 row_mask:0xf bank_mask:0xf// 00000000F9A8: 0A3636FA FF01578E
	v_mul_f32_dpp v28, v142, v28 row_newbcast:8 row_mask:0xf bank_mask:0xf// 00000000F9B0: 0A3838FA FF01588E
	v_mul_f32_dpp v29, v142, v29 row_newbcast:9 row_mask:0xf bank_mask:0xf// 00000000F9B8: 0A3A3AFA FF01598E
	v_mul_f32_dpp v30, v142, v30 row_newbcast:10 row_mask:0xf bank_mask:0xf// 00000000F9C0: 0A3C3CFA FF015A8E
	v_mul_f32_dpp v31, v142, v31 row_newbcast:11 row_mask:0xf bank_mask:0xf// 00000000F9C8: 0A3E3EFA FF015B8E
	v_mul_f32_dpp v32, v142, v32 row_newbcast:12 row_mask:0xf bank_mask:0xf// 00000000F9D0: 0A4040FA FF015C8E
	v_mul_f32_dpp v33, v142, v33 row_newbcast:13 row_mask:0xf bank_mask:0xf// 00000000F9D8: 0A4242FA FF015D8E
	v_mul_f32_dpp v34, v142, v34 row_newbcast:14 row_mask:0xf bank_mask:0xf// 00000000F9E0: 0A4444FA FF015E8E
	v_mul_f32_dpp v35, v142, v35 row_newbcast:15 row_mask:0xf bank_mask:0xf// 00000000F9E8: 0A4646FA FF015F8E
	v_mul_f32_dpp v36, v142, v36 row_newbcast:0 row_mask:0xf bank_mask:0xf// 00000000F9F0: 0A4848FA FF01508E
	v_mul_f32_dpp v37, v142, v37 row_newbcast:1 row_mask:0xf bank_mask:0xf// 00000000F9F8: 0A4A4AFA FF01518E
	v_mul_f32_dpp v38, v142, v38 row_newbcast:2 row_mask:0xf bank_mask:0xf// 00000000FA00: 0A4C4CFA FF01528E
	v_mul_f32_dpp v39, v142, v39 row_newbcast:3 row_mask:0xf bank_mask:0xf// 00000000FA08: 0A4E4EFA FF01538E
	v_mul_f32_dpp v40, v142, v40 row_newbcast:4 row_mask:0xf bank_mask:0xf// 00000000FA10: 0A5050FA FF01548E
	v_mul_f32_dpp v41, v142, v41 row_newbcast:5 row_mask:0xf bank_mask:0xf// 00000000FA18: 0A5252FA FF01558E
	v_mul_f32_dpp v42, v142, v42 row_newbcast:6 row_mask:0xf bank_mask:0xf// 00000000FA20: 0A5454FA FF01568E
	v_mul_f32_dpp v43, v142, v43 row_newbcast:7 row_mask:0xf bank_mask:0xf// 00000000FA28: 0A5656FA FF01578E
	v_mul_f32_dpp v44, v142, v44 row_newbcast:8 row_mask:0xf bank_mask:0xf// 00000000FA30: 0A5858FA FF01588E
	v_mul_f32_dpp v45, v142, v45 row_newbcast:9 row_mask:0xf bank_mask:0xf// 00000000FA38: 0A5A5AFA FF01598E
	v_mul_f32_dpp v46, v142, v46 row_newbcast:10 row_mask:0xf bank_mask:0xf// 00000000FA40: 0A5C5CFA FF015A8E
	v_mul_f32_dpp v47, v142, v47 row_newbcast:11 row_mask:0xf bank_mask:0xf// 00000000FA48: 0A5E5EFA FF015B8E
	v_mul_f32_dpp v48, v142, v48 row_newbcast:12 row_mask:0xf bank_mask:0xf// 00000000FA50: 0A6060FA FF015C8E
	v_mul_f32_dpp v49, v142, v49 row_newbcast:13 row_mask:0xf bank_mask:0xf// 00000000FA58: 0A6262FA FF015D8E
	v_mul_f32_dpp v50, v142, v50 row_newbcast:14 row_mask:0xf bank_mask:0xf// 00000000FA60: 0A6464FA FF015E8E
	v_mul_f32_dpp v51, v142, v51 row_newbcast:15 row_mask:0xf bank_mask:0xf// 00000000FA68: 0A6666FA FF015F8E
	v_mul_f32_dpp v52, v142, v52 row_newbcast:0 row_mask:0xf bank_mask:0xf// 00000000FA70: 0A6868FA FF01508E
	v_mul_f32_dpp v53, v142, v53 row_newbcast:1 row_mask:0xf bank_mask:0xf// 00000000FA78: 0A6A6AFA FF01518E
	v_mul_f32_dpp v54, v142, v54 row_newbcast:2 row_mask:0xf bank_mask:0xf// 00000000FA80: 0A6C6CFA FF01528E
	v_mul_f32_dpp v55, v142, v55 row_newbcast:3 row_mask:0xf bank_mask:0xf// 00000000FA88: 0A6E6EFA FF01538E
	v_mul_f32_dpp v56, v142, v56 row_newbcast:4 row_mask:0xf bank_mask:0xf// 00000000FA90: 0A7070FA FF01548E
	v_mul_f32_dpp v57, v142, v57 row_newbcast:5 row_mask:0xf bank_mask:0xf// 00000000FA98: 0A7272FA FF01558E
	v_mul_f32_dpp v58, v142, v58 row_newbcast:6 row_mask:0xf bank_mask:0xf// 00000000FAA0: 0A7474FA FF01568E
	v_mul_f32_dpp v59, v142, v59 row_newbcast:7 row_mask:0xf bank_mask:0xf// 00000000FAA8: 0A7676FA FF01578E
	v_mul_f32_dpp v60, v142, v60 row_newbcast:8 row_mask:0xf bank_mask:0xf// 00000000FAB0: 0A7878FA FF01588E
	v_mul_f32_dpp v61, v142, v61 row_newbcast:9 row_mask:0xf bank_mask:0xf// 00000000FAB8: 0A7A7AFA FF01598E
	v_mul_f32_dpp v62, v142, v62 row_newbcast:10 row_mask:0xf bank_mask:0xf// 00000000FAC0: 0A7C7CFA FF015A8E
	v_mul_f32_dpp v63, v142, v63 row_newbcast:11 row_mask:0xf bank_mask:0xf// 00000000FAC8: 0A7E7EFA FF015B8E
	v_mul_f32_dpp v64, v142, v64 row_newbcast:12 row_mask:0xf bank_mask:0xf// 00000000FAD0: 0A8080FA FF015C8E
	v_mul_f32_dpp v65, v142, v65 row_newbcast:13 row_mask:0xf bank_mask:0xf// 00000000FAD8: 0A8282FA FF015D8E
	v_mul_f32_dpp v66, v142, v66 row_newbcast:14 row_mask:0xf bank_mask:0xf// 00000000FAE0: 0A8484FA FF015E8E
	v_mul_f32_dpp v67, v142, v67 row_newbcast:15 row_mask:0xf bank_mask:0xf// 00000000FAE8: 0A8686FA FF015F8E
	v_add_u32_e32 v196, s64, v215                              // 00000000FAF0: 6989AE40
	v_add_u32_e32 v197, 0, v196                                // 00000000FAF4: 698B8880
	v_cmp_lt_u32_e32 vcc, v197, v211                           // 00000000FAF8: 7D93A7C5
	v_cndmask_b32_e32 v4, 0, v4, vcc                           // 00000000FAFC: 00080880
	v_cmp_lt_u32_e32 vcc, v197, v212                           // 00000000FB00: 7D93A9C5
	v_cndmask_b32_e32 v20, 0, v20, vcc                         // 00000000FB04: 00282880
	v_cmp_lt_u32_e32 vcc, v197, v213                           // 00000000FB08: 7D93ABC5
	v_cndmask_b32_e32 v36, 0, v36, vcc                         // 00000000FB0C: 00484880
	v_cmp_lt_u32_e32 vcc, v197, v214                           // 00000000FB10: 7D93ADC5
	v_cndmask_b32_e32 v52, 0, v52, vcc                         // 00000000FB14: 00686880
	v_add_u32_e32 v197, 1, v196                                // 00000000FB18: 698B8881
	v_cmp_lt_u32_e32 vcc, v197, v211                           // 00000000FB1C: 7D93A7C5
	v_cndmask_b32_e32 v5, 0, v5, vcc                           // 00000000FB20: 000A0A80
	v_cmp_lt_u32_e32 vcc, v197, v212                           // 00000000FB24: 7D93A9C5
	v_cndmask_b32_e32 v21, 0, v21, vcc                         // 00000000FB28: 002A2A80
	v_cmp_lt_u32_e32 vcc, v197, v213                           // 00000000FB2C: 7D93ABC5
	v_cndmask_b32_e32 v37, 0, v37, vcc                         // 00000000FB30: 004A4A80
	v_cmp_lt_u32_e32 vcc, v197, v214                           // 00000000FB34: 7D93ADC5
	v_cndmask_b32_e32 v53, 0, v53, vcc                         // 00000000FB38: 006A6A80
	v_add_u32_e32 v197, 2, v196                                // 00000000FB3C: 698B8882
	v_cmp_lt_u32_e32 vcc, v197, v211                           // 00000000FB40: 7D93A7C5
	v_cndmask_b32_e32 v6, 0, v6, vcc                           // 00000000FB44: 000C0C80
	v_cmp_lt_u32_e32 vcc, v197, v212                           // 00000000FB48: 7D93A9C5
	v_cndmask_b32_e32 v22, 0, v22, vcc                         // 00000000FB4C: 002C2C80
	v_cmp_lt_u32_e32 vcc, v197, v213                           // 00000000FB50: 7D93ABC5
	v_cndmask_b32_e32 v38, 0, v38, vcc                         // 00000000FB54: 004C4C80
	v_cmp_lt_u32_e32 vcc, v197, v214                           // 00000000FB58: 7D93ADC5
	v_cndmask_b32_e32 v54, 0, v54, vcc                         // 00000000FB5C: 006C6C80
	v_add_u32_e32 v197, 3, v196                                // 00000000FB60: 698B8883
	v_cmp_lt_u32_e32 vcc, v197, v211                           // 00000000FB64: 7D93A7C5
	v_cndmask_b32_e32 v7, 0, v7, vcc                           // 00000000FB68: 000E0E80
	v_cmp_lt_u32_e32 vcc, v197, v212                           // 00000000FB6C: 7D93A9C5
	v_cndmask_b32_e32 v23, 0, v23, vcc                         // 00000000FB70: 002E2E80
	v_cmp_lt_u32_e32 vcc, v197, v213                           // 00000000FB74: 7D93ABC5
	v_cndmask_b32_e32 v39, 0, v39, vcc                         // 00000000FB78: 004E4E80
	v_cmp_lt_u32_e32 vcc, v197, v214                           // 00000000FB7C: 7D93ADC5
	v_cndmask_b32_e32 v55, 0, v55, vcc                         // 00000000FB80: 006E6E80
	v_add_u32_e32 v197, 64, v196                               // 00000000FB84: 698B88C0
	v_cmp_lt_u32_e32 vcc, v197, v211                           // 00000000FB88: 7D93A7C5
	v_cndmask_b32_e32 v8, 0, v8, vcc                           // 00000000FB8C: 00101080
	v_cmp_lt_u32_e32 vcc, v197, v212                           // 00000000FB90: 7D93A9C5
	v_cndmask_b32_e32 v24, 0, v24, vcc                         // 00000000FB94: 00303080
	v_cmp_lt_u32_e32 vcc, v197, v213                           // 00000000FB98: 7D93ABC5
	v_cndmask_b32_e32 v40, 0, v40, vcc                         // 00000000FB9C: 00505080
	v_cmp_lt_u32_e32 vcc, v197, v214                           // 00000000FBA0: 7D93ADC5
	v_cndmask_b32_e32 v56, 0, v56, vcc                         // 00000000FBA4: 00707080
	v_add_u32_e32 v197, 0x41, v196                             // 00000000FBA8: 698B88FF 00000041
	v_cmp_lt_u32_e32 vcc, v197, v211                           // 00000000FBB0: 7D93A7C5
	v_cndmask_b32_e32 v9, 0, v9, vcc                           // 00000000FBB4: 00121280
	v_cmp_lt_u32_e32 vcc, v197, v212                           // 00000000FBB8: 7D93A9C5
	v_cndmask_b32_e32 v25, 0, v25, vcc                         // 00000000FBBC: 00323280
	v_cmp_lt_u32_e32 vcc, v197, v213                           // 00000000FBC0: 7D93ABC5
	v_cndmask_b32_e32 v41, 0, v41, vcc                         // 00000000FBC4: 00525280
	v_cmp_lt_u32_e32 vcc, v197, v214                           // 00000000FBC8: 7D93ADC5
	v_cndmask_b32_e32 v57, 0, v57, vcc                         // 00000000FBCC: 00727280
	v_add_u32_e32 v197, 0x42, v196                             // 00000000FBD0: 698B88FF 00000042
	v_cmp_lt_u32_e32 vcc, v197, v211                           // 00000000FBD8: 7D93A7C5
	v_cndmask_b32_e32 v10, 0, v10, vcc                         // 00000000FBDC: 00141480
	v_cmp_lt_u32_e32 vcc, v197, v212                           // 00000000FBE0: 7D93A9C5
	v_cndmask_b32_e32 v26, 0, v26, vcc                         // 00000000FBE4: 00343480
	v_cmp_lt_u32_e32 vcc, v197, v213                           // 00000000FBE8: 7D93ABC5
	v_cndmask_b32_e32 v42, 0, v42, vcc                         // 00000000FBEC: 00545480
	v_cmp_lt_u32_e32 vcc, v197, v214                           // 00000000FBF0: 7D93ADC5
	v_cndmask_b32_e32 v58, 0, v58, vcc                         // 00000000FBF4: 00747480
	v_add_u32_e32 v197, 0x43, v196                             // 00000000FBF8: 698B88FF 00000043
	v_cmp_lt_u32_e32 vcc, v197, v211                           // 00000000FC00: 7D93A7C5
	v_cndmask_b32_e32 v11, 0, v11, vcc                         // 00000000FC04: 00161680
	v_cmp_lt_u32_e32 vcc, v197, v212                           // 00000000FC08: 7D93A9C5
	v_cndmask_b32_e32 v27, 0, v27, vcc                         // 00000000FC0C: 00363680
	v_cmp_lt_u32_e32 vcc, v197, v213                           // 00000000FC10: 7D93ABC5
	v_cndmask_b32_e32 v43, 0, v43, vcc                         // 00000000FC14: 00565680
	v_cmp_lt_u32_e32 vcc, v197, v214                           // 00000000FC18: 7D93ADC5
	v_cndmask_b32_e32 v59, 0, v59, vcc                         // 00000000FC1C: 00767680
	v_add_u32_e32 v197, 0x80, v196                             // 00000000FC20: 698B88FF 00000080
	v_cmp_lt_u32_e32 vcc, v197, v211                           // 00000000FC28: 7D93A7C5
	v_cndmask_b32_e32 v12, 0, v12, vcc                         // 00000000FC2C: 00181880
	v_cmp_lt_u32_e32 vcc, v197, v212                           // 00000000FC30: 7D93A9C5
	v_cndmask_b32_e32 v28, 0, v28, vcc                         // 00000000FC34: 00383880
	v_cmp_lt_u32_e32 vcc, v197, v213                           // 00000000FC38: 7D93ABC5
	v_cndmask_b32_e32 v44, 0, v44, vcc                         // 00000000FC3C: 00585880
	v_cmp_lt_u32_e32 vcc, v197, v214                           // 00000000FC40: 7D93ADC5
	v_cndmask_b32_e32 v60, 0, v60, vcc                         // 00000000FC44: 00787880
	v_add_u32_e32 v197, 0x81, v196                             // 00000000FC48: 698B88FF 00000081
	v_cmp_lt_u32_e32 vcc, v197, v211                           // 00000000FC50: 7D93A7C5
	v_cndmask_b32_e32 v13, 0, v13, vcc                         // 00000000FC54: 001A1A80
	v_cmp_lt_u32_e32 vcc, v197, v212                           // 00000000FC58: 7D93A9C5
	v_cndmask_b32_e32 v29, 0, v29, vcc                         // 00000000FC5C: 003A3A80
	v_cmp_lt_u32_e32 vcc, v197, v213                           // 00000000FC60: 7D93ABC5
	v_cndmask_b32_e32 v45, 0, v45, vcc                         // 00000000FC64: 005A5A80
	v_cmp_lt_u32_e32 vcc, v197, v214                           // 00000000FC68: 7D93ADC5
	v_cndmask_b32_e32 v61, 0, v61, vcc                         // 00000000FC6C: 007A7A80
	v_add_u32_e32 v197, 0x82, v196                             // 00000000FC70: 698B88FF 00000082
	v_cmp_lt_u32_e32 vcc, v197, v211                           // 00000000FC78: 7D93A7C5
	v_cndmask_b32_e32 v14, 0, v14, vcc                         // 00000000FC7C: 001C1C80
	v_cmp_lt_u32_e32 vcc, v197, v212                           // 00000000FC80: 7D93A9C5
	v_cndmask_b32_e32 v30, 0, v30, vcc                         // 00000000FC84: 003C3C80
	v_cmp_lt_u32_e32 vcc, v197, v213                           // 00000000FC88: 7D93ABC5
	v_cndmask_b32_e32 v46, 0, v46, vcc                         // 00000000FC8C: 005C5C80
	v_cmp_lt_u32_e32 vcc, v197, v214                           // 00000000FC90: 7D93ADC5
	v_cndmask_b32_e32 v62, 0, v62, vcc                         // 00000000FC94: 007C7C80
	v_add_u32_e32 v197, 0x83, v196                             // 00000000FC98: 698B88FF 00000083
	v_cmp_lt_u32_e32 vcc, v197, v211                           // 00000000FCA0: 7D93A7C5
	v_cndmask_b32_e32 v15, 0, v15, vcc                         // 00000000FCA4: 001E1E80
	v_cmp_lt_u32_e32 vcc, v197, v212                           // 00000000FCA8: 7D93A9C5
	v_cndmask_b32_e32 v31, 0, v31, vcc                         // 00000000FCAC: 003E3E80
	v_cmp_lt_u32_e32 vcc, v197, v213                           // 00000000FCB0: 7D93ABC5
	v_cndmask_b32_e32 v47, 0, v47, vcc                         // 00000000FCB4: 005E5E80
	v_cmp_lt_u32_e32 vcc, v197, v214                           // 00000000FCB8: 7D93ADC5
	v_cndmask_b32_e32 v63, 0, v63, vcc                         // 00000000FCBC: 007E7E80
	v_add_u32_e32 v197, 0xc0, v196                             // 00000000FCC0: 698B88FF 000000C0
	v_cmp_lt_u32_e32 vcc, v197, v211                           // 00000000FCC8: 7D93A7C5
	v_cndmask_b32_e32 v16, 0, v16, vcc                         // 00000000FCCC: 00202080
	v_cmp_lt_u32_e32 vcc, v197, v212                           // 00000000FCD0: 7D93A9C5
	v_cndmask_b32_e32 v32, 0, v32, vcc                         // 00000000FCD4: 00404080
	v_cmp_lt_u32_e32 vcc, v197, v213                           // 00000000FCD8: 7D93ABC5
	v_cndmask_b32_e32 v48, 0, v48, vcc                         // 00000000FCDC: 00606080
	v_cmp_lt_u32_e32 vcc, v197, v214                           // 00000000FCE0: 7D93ADC5
	v_cndmask_b32_e32 v64, 0, v64, vcc                         // 00000000FCE4: 00808080
	v_add_u32_e32 v197, 0xc1, v196                             // 00000000FCE8: 698B88FF 000000C1
	v_cmp_lt_u32_e32 vcc, v197, v211                           // 00000000FCF0: 7D93A7C5
	v_cndmask_b32_e32 v17, 0, v17, vcc                         // 00000000FCF4: 00222280
	v_cmp_lt_u32_e32 vcc, v197, v212                           // 00000000FCF8: 7D93A9C5
	v_cndmask_b32_e32 v33, 0, v33, vcc                         // 00000000FCFC: 00424280
	v_cmp_lt_u32_e32 vcc, v197, v213                           // 00000000FD00: 7D93ABC5
	v_cndmask_b32_e32 v49, 0, v49, vcc                         // 00000000FD04: 00626280
	v_cmp_lt_u32_e32 vcc, v197, v214                           // 00000000FD08: 7D93ADC5
	v_cndmask_b32_e32 v65, 0, v65, vcc                         // 00000000FD0C: 00828280
	v_add_u32_e32 v197, 0xc2, v196                             // 00000000FD10: 698B88FF 000000C2
	v_cmp_lt_u32_e32 vcc, v197, v211                           // 00000000FD18: 7D93A7C5
	v_cndmask_b32_e32 v18, 0, v18, vcc                         // 00000000FD1C: 00242480
	v_cmp_lt_u32_e32 vcc, v197, v212                           // 00000000FD20: 7D93A9C5
	v_cndmask_b32_e32 v34, 0, v34, vcc                         // 00000000FD24: 00444480
	v_cmp_lt_u32_e32 vcc, v197, v213                           // 00000000FD28: 7D93ABC5
	v_cndmask_b32_e32 v50, 0, v50, vcc                         // 00000000FD2C: 00646480
	v_cmp_lt_u32_e32 vcc, v197, v214                           // 00000000FD30: 7D93ADC5
	v_cndmask_b32_e32 v66, 0, v66, vcc                         // 00000000FD34: 00848480
	v_add_u32_e32 v197, 0xc3, v196                             // 00000000FD38: 698B88FF 000000C3
	v_cmp_lt_u32_e32 vcc, v197, v211                           // 00000000FD40: 7D93A7C5
	v_cndmask_b32_e32 v19, 0, v19, vcc                         // 00000000FD44: 00262680
	v_cmp_lt_u32_e32 vcc, v197, v212                           // 00000000FD48: 7D93A9C5
	v_cndmask_b32_e32 v35, 0, v35, vcc                         // 00000000FD4C: 00464680
	v_cmp_lt_u32_e32 vcc, v197, v213                           // 00000000FD50: 7D93ABC5
	v_cndmask_b32_e32 v51, 0, v51, vcc                         // 00000000FD54: 00666680
	v_cmp_lt_u32_e32 vcc, v197, v214                           // 00000000FD58: 7D93ADC5
	v_cndmask_b32_e32 v67, 0, v67, vcc                         // 00000000FD5C: 00868680
	buffer_load_dword v141, v231, s[20:23], 0 offen            // 00000000FD60: E0501000 80058DE7
	s_waitcnt lgkmcnt(0)                                       // 00000000FD68: BF8CC07F
	s_barrier                                                  // 00000000FD6C: BF8A0000
	buffer_load_dword v143, v232, s[24:27], 0 offen            // 00000000FD70: E0501000 80068FE8
	s_waitcnt lgkmcnt(0)                                       // 00000000FD78: BF8CC07F
	v_sub_f32_e32 v176, v176, v152                             // 00000000FD7C: 056131B0
	v_sub_f32_e32 v177, v177, v153                             // 00000000FD80: 056333B1
	v_sub_f32_e32 v178, v178, v154                             // 00000000FD84: 056535B2
	v_sub_f32_e32 v179, v179, v155                             // 00000000FD88: 056737B3
	v_mul_f32_e32 v176, s46, v176                              // 00000000FD8C: 0B61602E
	v_mul_f32_e32 v177, s46, v177                              // 00000000FD90: 0B63622E
	v_mul_f32_e32 v178, s46, v178                              // 00000000FD94: 0B65642E
	v_mul_f32_e32 v179, s46, v179                              // 00000000FD98: 0B67662E
	v_exp_f32_e32 v176, v176                                   // 00000000FD9C: 7F6041B0
	v_exp_f32_e32 v177, v177                                   // 00000000FDA0: 7F6241B1
	v_exp_f32_e32 v178, v178                                   // 00000000FDA4: 7F6441B2
	v_exp_f32_e32 v179, v179                                   // 00000000FDA8: 7F6641B3
	v_mul_f32_e32 v176, v142, v176                             // 00000000FDAC: 0B61618E
	v_mul_f32_e32 v177, v142, v177                             // 00000000FDB0: 0B63638E
	v_mul_f32_e32 v178, v142, v178                             // 00000000FDB4: 0B65658E
	v_mul_f32_e32 v179, v142, v179                             // 00000000FDB8: 0B67678E
	v_add_f32_e32 v176, 0x3089705f, v176                       // 00000000FDBC: 036160FF 3089705F
	v_add_f32_e32 v177, 0x3089705f, v177                       // 00000000FDC4: 036362FF 3089705F
	v_add_f32_e32 v178, 0x3089705f, v178                       // 00000000FDCC: 036564FF 3089705F
	v_add_f32_e32 v179, 0x3089705f, v179                       // 00000000FDD4: 036766FF 3089705F
	v_rcp_f32_e32 v176, v176                                   // 00000000FDDC: 7F6045B0
	v_rcp_f32_e32 v177, v177                                   // 00000000FDE0: 7F6245B1
	v_rcp_f32_e32 v178, v178                                   // 00000000FDE4: 7F6445B2
	v_rcp_f32_e32 v179, v179                                   // 00000000FDE8: 7F6645B3
	v_mul_f32_e32 v176, 0x43700000, v176                       // 00000000FDEC: 0B6160FF 43700000
	v_mul_f32_e32 v177, 0x43700000, v177                       // 00000000FDF4: 0B6362FF 43700000
	v_mul_f32_e32 v178, 0x43700000, v178                       // 00000000FDFC: 0B6564FF 43700000
	v_mul_f32_e32 v179, 0x43700000, v179                       // 00000000FE04: 0B6766FF 43700000
	v_mul_f32_e32 v4, v176, v4                                 // 00000000FE0C: 0A0809B0
	v_mul_f32_e32 v5, v176, v5                                 // 00000000FE10: 0A0A0BB0
	v_mul_f32_e32 v6, v176, v6                                 // 00000000FE14: 0A0C0DB0
	v_mul_f32_e32 v7, v176, v7                                 // 00000000FE18: 0A0E0FB0
	v_mul_f32_e32 v8, v176, v8                                 // 00000000FE1C: 0A1011B0
	v_mul_f32_e32 v9, v176, v9                                 // 00000000FE20: 0A1213B0
	v_mul_f32_e32 v10, v176, v10                               // 00000000FE24: 0A1415B0
	v_mul_f32_e32 v11, v176, v11                               // 00000000FE28: 0A1617B0
	v_mul_f32_e32 v12, v176, v12                               // 00000000FE2C: 0A1819B0
	v_mul_f32_e32 v13, v176, v13                               // 00000000FE30: 0A1A1BB0
	v_mul_f32_e32 v14, v176, v14                               // 00000000FE34: 0A1C1DB0
	v_mul_f32_e32 v15, v176, v15                               // 00000000FE38: 0A1E1FB0
	v_mul_f32_e32 v16, v176, v16                               // 00000000FE3C: 0A2021B0
	v_mul_f32_e32 v17, v176, v17                               // 00000000FE40: 0A2223B0
	v_mul_f32_e32 v18, v176, v18                               // 00000000FE44: 0A2425B0
	v_mul_f32_e32 v19, v176, v19                               // 00000000FE48: 0A2627B0
	v_mul_f32_e32 v20, v177, v20                               // 00000000FE4C: 0A2829B1
	v_mul_f32_e32 v21, v177, v21                               // 00000000FE50: 0A2A2BB1
	v_mul_f32_e32 v22, v177, v22                               // 00000000FE54: 0A2C2DB1
	v_mul_f32_e32 v23, v177, v23                               // 00000000FE58: 0A2E2FB1
	v_mul_f32_e32 v24, v177, v24                               // 00000000FE5C: 0A3031B1
	v_mul_f32_e32 v25, v177, v25                               // 00000000FE60: 0A3233B1
	v_mul_f32_e32 v26, v177, v26                               // 00000000FE64: 0A3435B1
	v_mul_f32_e32 v27, v177, v27                               // 00000000FE68: 0A3637B1
	v_mul_f32_e32 v28, v177, v28                               // 00000000FE6C: 0A3839B1
	v_mul_f32_e32 v29, v177, v29                               // 00000000FE70: 0A3A3BB1
	v_mul_f32_e32 v30, v177, v30                               // 00000000FE74: 0A3C3DB1
	v_mul_f32_e32 v31, v177, v31                               // 00000000FE78: 0A3E3FB1
	v_mul_f32_e32 v32, v177, v32                               // 00000000FE7C: 0A4041B1
	v_mul_f32_e32 v33, v177, v33                               // 00000000FE80: 0A4243B1
	v_mul_f32_e32 v34, v177, v34                               // 00000000FE84: 0A4445B1
	v_mul_f32_e32 v35, v177, v35                               // 00000000FE88: 0A4647B1
	v_mul_f32_e32 v36, v178, v36                               // 00000000FE8C: 0A4849B2
	v_mul_f32_e32 v37, v178, v37                               // 00000000FE90: 0A4A4BB2
	v_mul_f32_e32 v38, v178, v38                               // 00000000FE94: 0A4C4DB2
	v_mul_f32_e32 v39, v178, v39                               // 00000000FE98: 0A4E4FB2
	v_mul_f32_e32 v40, v178, v40                               // 00000000FE9C: 0A5051B2
	v_mul_f32_e32 v41, v178, v41                               // 00000000FEA0: 0A5253B2
	v_mul_f32_e32 v42, v178, v42                               // 00000000FEA4: 0A5455B2
	v_mul_f32_e32 v43, v178, v43                               // 00000000FEA8: 0A5657B2
	v_mul_f32_e32 v44, v178, v44                               // 00000000FEAC: 0A5859B2
	v_mul_f32_e32 v45, v178, v45                               // 00000000FEB0: 0A5A5BB2
	v_mul_f32_e32 v46, v178, v46                               // 00000000FEB4: 0A5C5DB2
	v_mul_f32_e32 v47, v178, v47                               // 00000000FEB8: 0A5E5FB2
	v_mul_f32_e32 v48, v178, v48                               // 00000000FEBC: 0A6061B2
	v_mul_f32_e32 v49, v178, v49                               // 00000000FEC0: 0A6263B2
	v_mul_f32_e32 v50, v178, v50                               // 00000000FEC4: 0A6465B2
	v_mul_f32_e32 v51, v178, v51                               // 00000000FEC8: 0A6667B2
	v_mul_f32_e32 v52, v179, v52                               // 00000000FECC: 0A6869B3
	v_mul_f32_e32 v53, v179, v53                               // 00000000FED0: 0A6A6BB3
	v_mul_f32_e32 v54, v179, v54                               // 00000000FED4: 0A6C6DB3
	v_mul_f32_e32 v55, v179, v55                               // 00000000FED8: 0A6E6FB3
	v_mul_f32_e32 v56, v179, v56                               // 00000000FEDC: 0A7071B3
	v_mul_f32_e32 v57, v179, v57                               // 00000000FEE0: 0A7273B3
	v_mul_f32_e32 v58, v179, v58                               // 00000000FEE4: 0A7475B3
	v_mul_f32_e32 v59, v179, v59                               // 00000000FEE8: 0A7677B3
	v_mul_f32_e32 v60, v179, v60                               // 00000000FEEC: 0A7879B3
	v_mul_f32_e32 v61, v179, v61                               // 00000000FEF0: 0A7A7BB3
	v_mul_f32_e32 v62, v179, v62                               // 00000000FEF4: 0A7C7DB3
	v_mul_f32_e32 v63, v179, v63                               // 00000000FEF8: 0A7E7FB3
	v_mul_f32_e32 v64, v179, v64                               // 00000000FEFC: 0A8081B3
	v_mul_f32_e32 v65, v179, v65                               // 00000000FF00: 0A8283B3
	v_mul_f32_e32 v66, v179, v66                               // 00000000FF04: 0A8485B3
	v_mul_f32_e32 v67, v179, v67                               // 00000000FF08: 0A8687B3
	v_cvt_pk_fp8_f32 v4, v4, v5                                // 00000000FF0C: D2A20004 00020B04
	v_cvt_pk_fp8_f32 v4, v6, v7 op_sel:[0,0,1]                 // 00000000FF14: D2A24004 00020F06
	v_cvt_pk_fp8_f32 v5, v8, v9                                // 00000000FF1C: D2A20005 00021308
	v_cvt_pk_fp8_f32 v5, v10, v11 op_sel:[0,0,1]               // 00000000FF24: D2A24005 0002170A
	v_cvt_pk_fp8_f32 v6, v12, v13                              // 00000000FF2C: D2A20006 00021B0C
	v_cvt_pk_fp8_f32 v6, v14, v15 op_sel:[0,0,1]               // 00000000FF34: D2A24006 00021F0E
	v_cvt_pk_fp8_f32 v7, v16, v17                              // 00000000FF3C: D2A20007 00022310
	v_cvt_pk_fp8_f32 v7, v18, v19 op_sel:[0,0,1]               // 00000000FF44: D2A24007 00022712
	v_cvt_pk_fp8_f32 v8, v20, v21                              // 00000000FF4C: D2A20008 00022B14
	v_cvt_pk_fp8_f32 v8, v22, v23 op_sel:[0,0,1]               // 00000000FF54: D2A24008 00022F16
	v_cvt_pk_fp8_f32 v9, v24, v25                              // 00000000FF5C: D2A20009 00023318
	v_cvt_pk_fp8_f32 v9, v26, v27 op_sel:[0,0,1]               // 00000000FF64: D2A24009 0002371A
	v_cvt_pk_fp8_f32 v10, v28, v29                             // 00000000FF6C: D2A2000A 00023B1C
	v_cvt_pk_fp8_f32 v10, v30, v31 op_sel:[0,0,1]              // 00000000FF74: D2A2400A 00023F1E
	v_cvt_pk_fp8_f32 v11, v32, v33                             // 00000000FF7C: D2A2000B 00024320
	v_cvt_pk_fp8_f32 v11, v34, v35 op_sel:[0,0,1]              // 00000000FF84: D2A2400B 00024722
	v_cvt_pk_fp8_f32 v12, v36, v37                             // 00000000FF8C: D2A2000C 00024B24
	v_cvt_pk_fp8_f32 v12, v38, v39 op_sel:[0,0,1]              // 00000000FF94: D2A2400C 00024F26
	v_cvt_pk_fp8_f32 v13, v40, v41                             // 00000000FF9C: D2A2000D 00025328
	v_cvt_pk_fp8_f32 v13, v42, v43 op_sel:[0,0,1]              // 00000000FFA4: D2A2400D 0002572A
	v_cvt_pk_fp8_f32 v14, v44, v45                             // 00000000FFAC: D2A2000E 00025B2C
	v_cvt_pk_fp8_f32 v14, v46, v47 op_sel:[0,0,1]              // 00000000FFB4: D2A2400E 00025F2E
	v_cvt_pk_fp8_f32 v15, v48, v49                             // 00000000FFBC: D2A2000F 00026330
	v_cvt_pk_fp8_f32 v15, v50, v51 op_sel:[0,0,1]              // 00000000FFC4: D2A2400F 00026732
	v_cvt_pk_fp8_f32 v16, v52, v53                             // 00000000FFCC: D2A20010 00026B34
	v_cvt_pk_fp8_f32 v16, v54, v55 op_sel:[0,0,1]              // 00000000FFD4: D2A24010 00026F36
	v_cvt_pk_fp8_f32 v17, v56, v57                             // 00000000FFDC: D2A20011 00027338
	v_cvt_pk_fp8_f32 v17, v58, v59 op_sel:[0,0,1]              // 00000000FFE4: D2A24011 0002773A
	v_cvt_pk_fp8_f32 v18, v60, v61                             // 00000000FFEC: D2A20012 00027B3C
	v_cvt_pk_fp8_f32 v18, v62, v63 op_sel:[0,0,1]              // 00000000FFF4: D2A24012 00027F3E
	v_cvt_pk_fp8_f32 v19, v64, v65                             // 00000000FFFC: D2A20013 00028340
	v_cvt_pk_fp8_f32 v19, v66, v67 op_sel:[0,0,1]              // 000000010004: D2A24013 00028742
	ds_write_b32 v249, v4 offset:8192                          // 00000001000C: D81A2000 000004F9
	ds_write_b32 v249, v5 offset:9216                          // 000000010014: D81A2400 000005F9
	ds_write_b32 v249, v6 offset:10240                         // 00000001001C: D81A2800 000006F9
	ds_write_b32 v249, v7 offset:11264                         // 000000010024: D81A2C00 000007F9
	ds_write_b32 v249, v8 offset:12288                         // 00000001002C: D81A3000 000008F9
	ds_write_b32 v249, v9 offset:13312                         // 000000010034: D81A3400 000009F9
	ds_write_b32 v249, v10 offset:14336                        // 00000001003C: D81A3800 00000AF9
	ds_write_b32 v249, v11 offset:15360                        // 000000010044: D81A3C00 00000BF9
	ds_write_b32 v249, v12 offset:16384                        // 00000001004C: D81A4000 00000CF9
	ds_write_b32 v249, v13 offset:17408                        // 000000010054: D81A4400 00000DF9
	ds_write_b32 v249, v14 offset:18432                        // 00000001005C: D81A4800 00000EF9
	ds_write_b32 v249, v15 offset:19456                        // 000000010064: D81A4C00 00000FF9
	ds_write_b32 v249, v16 offset:20480                        // 00000001006C: D81A5000 000010F9
	ds_write_b32 v249, v17 offset:21504                        // 000000010074: D81A5400 000011F9
	ds_write_b32 v249, v18 offset:22528                        // 00000001007C: D81A5800 000012F9
	ds_write_b32 v249, v19 offset:23552                        // 000000010084: D81A5C00 000013F9
	v_rcp_f32_e32 v144, v176                                   // 00000001008C: 7F2045B0
	v_rcp_f32_e32 v146, v177                                   // 000000010090: 7F2445B1
	v_rcp_f32_e32 v148, v178                                   // 000000010094: 7F2845B2
	v_rcp_f32_e32 v150, v179                                   // 000000010098: 7F2C45B3
	v_mov_b32_e32 v145, v144                                   // 00000001009C: 7F220390
	v_mov_b32_e32 v147, v146                                   // 0000000100A0: 7F260392
	v_mov_b32_e32 v149, v148                                   // 0000000100A4: 7F2A0394
	v_mov_b32_e32 v151, v150                                   // 0000000100A8: 7F2E0396
	v_pk_add_f32 v[100:101], v[100:101], v[68:69]              // 0000000100AC: D3B24064 18028964
	v_pk_add_f32 v[102:103], v[102:103], v[70:71]              // 0000000100B4: D3B24066 18028D66
	v_pk_add_f32 v[104:105], v[104:105], v[72:73]              // 0000000100BC: D3B24068 18029168
	v_pk_add_f32 v[106:107], v[106:107], v[74:75]              // 0000000100C4: D3B2406A 1802956A
	v_pk_add_f32 v[108:109], v[108:109], v[76:77]              // 0000000100CC: D3B2406C 1802996C
	v_pk_add_f32 v[110:111], v[110:111], v[78:79]              // 0000000100D4: D3B2406E 18029D6E
	v_pk_add_f32 v[112:113], v[112:113], v[80:81]              // 0000000100DC: D3B24070 1802A170
	v_pk_add_f32 v[114:115], v[114:115], v[82:83]              // 0000000100E4: D3B24072 1802A572
	v_pk_add_f32 v[116:117], v[116:117], v[84:85]              // 0000000100EC: D3B24074 1802A974
	v_pk_add_f32 v[118:119], v[118:119], v[86:87]              // 0000000100F4: D3B24076 1802AD76
	v_pk_add_f32 v[120:121], v[120:121], v[88:89]              // 0000000100FC: D3B24078 1802B178
	v_pk_add_f32 v[122:123], v[122:123], v[90:91]              // 000000010104: D3B2407A 1802B57A
	v_pk_add_f32 v[124:125], v[124:125], v[92:93]              // 00000001010C: D3B2407C 1802B97C
	v_pk_add_f32 v[126:127], v[126:127], v[94:95]              // 000000010114: D3B2407E 1802BD7E
	v_pk_add_f32 v[128:129], v[128:129], v[96:97]              // 00000001011C: D3B24080 1802C180
	v_pk_add_f32 v[130:131], v[130:131], v[98:99]              // 000000010124: D3B24082 1802C582
	s_waitcnt lgkmcnt(0)                                       // 00000001012C: BF8CC07F
	s_barrier                                                  // 000000010130: BF8A0000
	ds_read_b128 v[4:7], v250 offset:8192                      // 000000010134: D9FE2000 040000FA
	ds_read_b128 v[8:11], v250 offset:9216                     // 00000001013C: D9FE2400 080000FA
	ds_read_b128 v[12:15], v250 offset:10240                   // 000000010144: D9FE2800 0C0000FA
	ds_read_b128 v[16:19], v250 offset:11264                   // 00000001014C: D9FE2C00 100000FA
	ds_read_b128 v[20:23], v250 offset:12288                   // 000000010154: D9FE3000 140000FA
	ds_read_b128 v[24:27], v250 offset:13312                   // 00000001015C: D9FE3400 180000FA
	ds_read_b128 v[28:31], v250 offset:14336                   // 000000010164: D9FE3800 1C0000FA
	ds_read_b128 v[32:35], v250 offset:15360                   // 00000001016C: D9FE3C00 200000FA
	ds_read_b128 v[36:39], v250 offset:16384                   // 000000010174: D9FE4000 240000FA
	ds_read_b128 v[40:43], v250 offset:17408                   // 00000001017C: D9FE4400 280000FA
	ds_read_b128 v[44:47], v250 offset:18432                   // 000000010184: D9FE4800 2C0000FA
	ds_read_b128 v[48:51], v250 offset:19456                   // 00000001018C: D9FE4C00 300000FA
	ds_read_b128 v[52:55], v250 offset:20480                   // 000000010194: D9FE5000 340000FA
	ds_read_b128 v[56:59], v250 offset:21504                   // 00000001019C: D9FE5400 380000FA
	ds_read_b128 v[60:63], v250 offset:22528                   // 0000000101A4: D9FE5800 3C0000FA
	ds_read_b128 v[64:67], v250 offset:23552                   // 0000000101AC: D9FE5C00 400000FA
	s_waitcnt vmcnt(10)                                        // 0000000101B4: BF8C0F7A
	v_lshrrev_b32_e32 v203, 4, v0                              // 0000000101B8: 21960084
	v_lshlrev_b32_e32 v203, 4, v203                            // 0000000101BC: 25979684
	v_add_u32_e32 v196, s64, v203                              // 0000000101C0: 69899640
	v_add_u32_e32 v196, 4, v196                                // 0000000101C4: 69898884
	v_sub_i32 v196, v196, s62                                  // 0000000101C8: D29D00C4 00007DC4
	s_mov_b32 s54, 0                                           // 0000000101D0: BEB60080
	v_add_i32 v197, s54, v196                                  // 0000000101D4: D29C00C5 00038836
	v_cmp_lt_i32_e64 vcc, v197, 4                              // 0000000101DC: D0C1006A 000109C5
	v_min_u32_e32 v197, 4, v197                                // 0000000101E4: 1D8B8A84
	v_lshlrev_b32_e32 v197, 3, v197                            // 0000000101E8: 258B8A83
	v_lshrrev_b32_e64 v198, v197, -1                           // 0000000101EC: D11000C6 000183C5
	v_accvgpr_read_b32 v199, a96                               // 0000000101F4: D3D840C7 18000160
	v_cndmask_b32_e32 v199, 0, v199, vcc                       // 0000000101FC: 018F8E80
	v_and_b32_e32 v199, v199, v198                             // 000000010200: 278F8DC7
	v_accvgpr_write_b32 a96, v199                              // 000000010204: D3D94060 180001C7
	v_accvgpr_read_b32 v199, a112                              // 00000001020C: D3D840C7 18000170
	v_cndmask_b32_e32 v199, 0, v199, vcc                       // 000000010214: 018F8E80
	v_and_b32_e32 v199, v199, v198                             // 000000010218: 278F8DC7
	v_accvgpr_write_b32 a112, v199                             // 00000001021C: D3D94070 180001C7
	s_mov_b32 s54, 4                                           // 000000010224: BEB60084
	v_add_i32 v197, s54, v196                                  // 000000010228: D29C00C5 00038836
	v_cmp_lt_i32_e64 vcc, v197, 4                              // 000000010230: D0C1006A 000109C5
	v_min_u32_e32 v197, 4, v197                                // 000000010238: 1D8B8A84
	v_lshlrev_b32_e32 v197, 3, v197                            // 00000001023C: 258B8A83
	v_lshrrev_b32_e64 v198, v197, -1                           // 000000010240: D11000C6 000183C5
	v_accvgpr_read_b32 v199, a97                               // 000000010248: D3D840C7 18000161
	v_cndmask_b32_e32 v199, 0, v199, vcc                       // 000000010250: 018F8E80
	v_and_b32_e32 v199, v199, v198                             // 000000010254: 278F8DC7
	v_accvgpr_write_b32 a97, v199                              // 000000010258: D3D94061 180001C7
	v_accvgpr_read_b32 v199, a113                              // 000000010260: D3D840C7 18000171
	v_cndmask_b32_e32 v199, 0, v199, vcc                       // 000000010268: 018F8E80
	v_and_b32_e32 v199, v199, v198                             // 00000001026C: 278F8DC7
	v_accvgpr_write_b32 a113, v199                             // 000000010270: D3D94071 180001C7
	s_mov_b32 s54, 8                                           // 000000010278: BEB60088
	v_add_i32 v197, s54, v196                                  // 00000001027C: D29C00C5 00038836
	v_cmp_lt_i32_e64 vcc, v197, 4                              // 000000010284: D0C1006A 000109C5
	v_min_u32_e32 v197, 4, v197                                // 00000001028C: 1D8B8A84
	v_lshlrev_b32_e32 v197, 3, v197                            // 000000010290: 258B8A83
	v_lshrrev_b32_e64 v198, v197, -1                           // 000000010294: D11000C6 000183C5
	v_accvgpr_read_b32 v199, a98                               // 00000001029C: D3D840C7 18000162
	v_cndmask_b32_e32 v199, 0, v199, vcc                       // 0000000102A4: 018F8E80
	v_and_b32_e32 v199, v199, v198                             // 0000000102A8: 278F8DC7
	v_accvgpr_write_b32 a98, v199                              // 0000000102AC: D3D94062 180001C7
	v_accvgpr_read_b32 v199, a114                              // 0000000102B4: D3D840C7 18000172
	v_cndmask_b32_e32 v199, 0, v199, vcc                       // 0000000102BC: 018F8E80
	v_and_b32_e32 v199, v199, v198                             // 0000000102C0: 278F8DC7
	v_accvgpr_write_b32 a114, v199                             // 0000000102C4: D3D94072 180001C7
	s_mov_b32 s54, 12                                          // 0000000102CC: BEB6008C
	v_add_i32 v197, s54, v196                                  // 0000000102D0: D29C00C5 00038836
	v_cmp_lt_i32_e64 vcc, v197, 4                              // 0000000102D8: D0C1006A 000109C5
	v_min_u32_e32 v197, 4, v197                                // 0000000102E0: 1D8B8A84
	v_lshlrev_b32_e32 v197, 3, v197                            // 0000000102E4: 258B8A83
	v_lshrrev_b32_e64 v198, v197, -1                           // 0000000102E8: D11000C6 000183C5
	v_accvgpr_read_b32 v199, a99                               // 0000000102F0: D3D840C7 18000163
	v_cndmask_b32_e32 v199, 0, v199, vcc                       // 0000000102F8: 018F8E80
	v_and_b32_e32 v199, v199, v198                             // 0000000102FC: 278F8DC7
	v_accvgpr_write_b32 a99, v199                              // 000000010300: D3D94063 180001C7
	v_accvgpr_read_b32 v199, a115                              // 000000010308: D3D840C7 18000173
	v_cndmask_b32_e32 v199, 0, v199, vcc                       // 000000010310: 018F8E80
	v_and_b32_e32 v199, v199, v198                             // 000000010314: 278F8DC7
	v_accvgpr_write_b32 a115, v199                             // 000000010318: D3D94073 180001C7
	s_mov_b32 s54, 64                                          // 000000010320: BEB600C0
	v_add_i32 v197, s54, v196                                  // 000000010324: D29C00C5 00038836
	v_cmp_lt_i32_e64 vcc, v197, 4                              // 00000001032C: D0C1006A 000109C5
	v_min_u32_e32 v197, 4, v197                                // 000000010334: 1D8B8A84
	v_lshlrev_b32_e32 v197, 3, v197                            // 000000010338: 258B8A83
	v_lshrrev_b32_e64 v198, v197, -1                           // 00000001033C: D11000C6 000183C5
	v_accvgpr_read_b32 v199, a100                              // 000000010344: D3D840C7 18000164
	v_cndmask_b32_e32 v199, 0, v199, vcc                       // 00000001034C: 018F8E80
	v_and_b32_e32 v199, v199, v198                             // 000000010350: 278F8DC7
	v_accvgpr_write_b32 a100, v199                             // 000000010354: D3D94064 180001C7
	v_accvgpr_read_b32 v199, a116                              // 00000001035C: D3D840C7 18000174
	v_cndmask_b32_e32 v199, 0, v199, vcc                       // 000000010364: 018F8E80
	v_and_b32_e32 v199, v199, v198                             // 000000010368: 278F8DC7
	v_accvgpr_write_b32 a116, v199                             // 00000001036C: D3D94074 180001C7
	s_mov_b32 s54, 0x44                                        // 000000010374: BEB600FF 00000044
	v_add_i32 v197, s54, v196                                  // 00000001037C: D29C00C5 00038836
	v_cmp_lt_i32_e64 vcc, v197, 4                              // 000000010384: D0C1006A 000109C5
	v_min_u32_e32 v197, 4, v197                                // 00000001038C: 1D8B8A84
	v_lshlrev_b32_e32 v197, 3, v197                            // 000000010390: 258B8A83
	v_lshrrev_b32_e64 v198, v197, -1                           // 000000010394: D11000C6 000183C5
	v_accvgpr_read_b32 v199, a101                              // 00000001039C: D3D840C7 18000165
	v_cndmask_b32_e32 v199, 0, v199, vcc                       // 0000000103A4: 018F8E80
	v_and_b32_e32 v199, v199, v198                             // 0000000103A8: 278F8DC7
	v_accvgpr_write_b32 a101, v199                             // 0000000103AC: D3D94065 180001C7
	v_accvgpr_read_b32 v199, a117                              // 0000000103B4: D3D840C7 18000175
	v_cndmask_b32_e32 v199, 0, v199, vcc                       // 0000000103BC: 018F8E80
	v_and_b32_e32 v199, v199, v198                             // 0000000103C0: 278F8DC7
	v_accvgpr_write_b32 a117, v199                             // 0000000103C4: D3D94075 180001C7
	s_mov_b32 s54, 0x48                                        // 0000000103CC: BEB600FF 00000048
	v_add_i32 v197, s54, v196                                  // 0000000103D4: D29C00C5 00038836
	v_cmp_lt_i32_e64 vcc, v197, 4                              // 0000000103DC: D0C1006A 000109C5
	v_min_u32_e32 v197, 4, v197                                // 0000000103E4: 1D8B8A84
	v_lshlrev_b32_e32 v197, 3, v197                            // 0000000103E8: 258B8A83
	v_lshrrev_b32_e64 v198, v197, -1                           // 0000000103EC: D11000C6 000183C5
	v_accvgpr_read_b32 v199, a102                              // 0000000103F4: D3D840C7 18000166
	v_cndmask_b32_e32 v199, 0, v199, vcc                       // 0000000103FC: 018F8E80
	v_and_b32_e32 v199, v199, v198                             // 000000010400: 278F8DC7
	v_accvgpr_write_b32 a102, v199                             // 000000010404: D3D94066 180001C7
	v_accvgpr_read_b32 v199, a118                              // 00000001040C: D3D840C7 18000176
	v_cndmask_b32_e32 v199, 0, v199, vcc                       // 000000010414: 018F8E80
	v_and_b32_e32 v199, v199, v198                             // 000000010418: 278F8DC7
	v_accvgpr_write_b32 a118, v199                             // 00000001041C: D3D94076 180001C7
	s_mov_b32 s54, 0x4c                                        // 000000010424: BEB600FF 0000004C
	v_add_i32 v197, s54, v196                                  // 00000001042C: D29C00C5 00038836
	v_cmp_lt_i32_e64 vcc, v197, 4                              // 000000010434: D0C1006A 000109C5
	v_min_u32_e32 v197, 4, v197                                // 00000001043C: 1D8B8A84
	v_lshlrev_b32_e32 v197, 3, v197                            // 000000010440: 258B8A83
	v_lshrrev_b32_e64 v198, v197, -1                           // 000000010444: D11000C6 000183C5
	v_accvgpr_read_b32 v199, a103                              // 00000001044C: D3D840C7 18000167
	v_cndmask_b32_e32 v199, 0, v199, vcc                       // 000000010454: 018F8E80
	v_and_b32_e32 v199, v199, v198                             // 000000010458: 278F8DC7
	v_accvgpr_write_b32 a103, v199                             // 00000001045C: D3D94067 180001C7
	v_accvgpr_read_b32 v199, a119                              // 000000010464: D3D840C7 18000177
	v_cndmask_b32_e32 v199, 0, v199, vcc                       // 00000001046C: 018F8E80
	v_and_b32_e32 v199, v199, v198                             // 000000010470: 278F8DC7
	v_accvgpr_write_b32 a119, v199                             // 000000010474: D3D94077 180001C7
	s_mov_b32 s54, 0x80                                        // 00000001047C: BEB600FF 00000080
	v_add_i32 v197, s54, v196                                  // 000000010484: D29C00C5 00038836
	v_cmp_lt_i32_e64 vcc, v197, 4                              // 00000001048C: D0C1006A 000109C5
	v_min_u32_e32 v197, 4, v197                                // 000000010494: 1D8B8A84
	v_lshlrev_b32_e32 v197, 3, v197                            // 000000010498: 258B8A83
	v_lshrrev_b32_e64 v198, v197, -1                           // 00000001049C: D11000C6 000183C5
	v_accvgpr_read_b32 v199, a104                              // 0000000104A4: D3D840C7 18000168
	v_cndmask_b32_e32 v199, 0, v199, vcc                       // 0000000104AC: 018F8E80
	v_and_b32_e32 v199, v199, v198                             // 0000000104B0: 278F8DC7
	v_accvgpr_write_b32 a104, v199                             // 0000000104B4: D3D94068 180001C7
	v_accvgpr_read_b32 v199, a120                              // 0000000104BC: D3D840C7 18000178
	v_cndmask_b32_e32 v199, 0, v199, vcc                       // 0000000104C4: 018F8E80
	v_and_b32_e32 v199, v199, v198                             // 0000000104C8: 278F8DC7
	v_accvgpr_write_b32 a120, v199                             // 0000000104CC: D3D94078 180001C7
	s_mov_b32 s54, 0x84                                        // 0000000104D4: BEB600FF 00000084
	v_add_i32 v197, s54, v196                                  // 0000000104DC: D29C00C5 00038836
	v_cmp_lt_i32_e64 vcc, v197, 4                              // 0000000104E4: D0C1006A 000109C5
	v_min_u32_e32 v197, 4, v197                                // 0000000104EC: 1D8B8A84
	v_lshlrev_b32_e32 v197, 3, v197                            // 0000000104F0: 258B8A83
	v_lshrrev_b32_e64 v198, v197, -1                           // 0000000104F4: D11000C6 000183C5
	v_accvgpr_read_b32 v199, a105                              // 0000000104FC: D3D840C7 18000169
	v_cndmask_b32_e32 v199, 0, v199, vcc                       // 000000010504: 018F8E80
	v_and_b32_e32 v199, v199, v198                             // 000000010508: 278F8DC7
	v_accvgpr_write_b32 a105, v199                             // 00000001050C: D3D94069 180001C7
	v_accvgpr_read_b32 v199, a121                              // 000000010514: D3D840C7 18000179
	v_cndmask_b32_e32 v199, 0, v199, vcc                       // 00000001051C: 018F8E80
	v_and_b32_e32 v199, v199, v198                             // 000000010520: 278F8DC7
	v_accvgpr_write_b32 a121, v199                             // 000000010524: D3D94079 180001C7
	s_mov_b32 s54, 0x88                                        // 00000001052C: BEB600FF 00000088
	v_add_i32 v197, s54, v196                                  // 000000010534: D29C00C5 00038836
	v_cmp_lt_i32_e64 vcc, v197, 4                              // 00000001053C: D0C1006A 000109C5
	v_min_u32_e32 v197, 4, v197                                // 000000010544: 1D8B8A84
	v_lshlrev_b32_e32 v197, 3, v197                            // 000000010548: 258B8A83
	v_lshrrev_b32_e64 v198, v197, -1                           // 00000001054C: D11000C6 000183C5
	v_accvgpr_read_b32 v199, a106                              // 000000010554: D3D840C7 1800016A
	v_cndmask_b32_e32 v199, 0, v199, vcc                       // 00000001055C: 018F8E80
	v_and_b32_e32 v199, v199, v198                             // 000000010560: 278F8DC7
	v_accvgpr_write_b32 a106, v199                             // 000000010564: D3D9406A 180001C7
	v_accvgpr_read_b32 v199, a122                              // 00000001056C: D3D840C7 1800017A
	v_cndmask_b32_e32 v199, 0, v199, vcc                       // 000000010574: 018F8E80
	v_and_b32_e32 v199, v199, v198                             // 000000010578: 278F8DC7
	v_accvgpr_write_b32 a122, v199                             // 00000001057C: D3D9407A 180001C7
	s_mov_b32 s54, 0x8c                                        // 000000010584: BEB600FF 0000008C
	v_add_i32 v197, s54, v196                                  // 00000001058C: D29C00C5 00038836
	v_cmp_lt_i32_e64 vcc, v197, 4                              // 000000010594: D0C1006A 000109C5
	v_min_u32_e32 v197, 4, v197                                // 00000001059C: 1D8B8A84
	v_lshlrev_b32_e32 v197, 3, v197                            // 0000000105A0: 258B8A83
	v_lshrrev_b32_e64 v198, v197, -1                           // 0000000105A4: D11000C6 000183C5
	v_accvgpr_read_b32 v199, a107                              // 0000000105AC: D3D840C7 1800016B
	v_cndmask_b32_e32 v199, 0, v199, vcc                       // 0000000105B4: 018F8E80
	v_and_b32_e32 v199, v199, v198                             // 0000000105B8: 278F8DC7
	v_accvgpr_write_b32 a107, v199                             // 0000000105BC: D3D9406B 180001C7
	v_accvgpr_read_b32 v199, a123                              // 0000000105C4: D3D840C7 1800017B
	v_cndmask_b32_e32 v199, 0, v199, vcc                       // 0000000105CC: 018F8E80
	v_and_b32_e32 v199, v199, v198                             // 0000000105D0: 278F8DC7
	v_accvgpr_write_b32 a123, v199                             // 0000000105D4: D3D9407B 180001C7
	s_mov_b32 s54, 0xc0                                        // 0000000105DC: BEB600FF 000000C0
	v_add_i32 v197, s54, v196                                  // 0000000105E4: D29C00C5 00038836
	v_cmp_lt_i32_e64 vcc, v197, 4                              // 0000000105EC: D0C1006A 000109C5
	v_min_u32_e32 v197, 4, v197                                // 0000000105F4: 1D8B8A84
	v_lshlrev_b32_e32 v197, 3, v197                            // 0000000105F8: 258B8A83
	v_lshrrev_b32_e64 v198, v197, -1                           // 0000000105FC: D11000C6 000183C5
	v_accvgpr_read_b32 v199, a108                              // 000000010604: D3D840C7 1800016C
	v_cndmask_b32_e32 v199, 0, v199, vcc                       // 00000001060C: 018F8E80
	v_and_b32_e32 v199, v199, v198                             // 000000010610: 278F8DC7
	v_accvgpr_write_b32 a108, v199                             // 000000010614: D3D9406C 180001C7
	v_accvgpr_read_b32 v199, a124                              // 00000001061C: D3D840C7 1800017C
	v_cndmask_b32_e32 v199, 0, v199, vcc                       // 000000010624: 018F8E80
	v_and_b32_e32 v199, v199, v198                             // 000000010628: 278F8DC7
	v_accvgpr_write_b32 a124, v199                             // 00000001062C: D3D9407C 180001C7
	s_mov_b32 s54, 0xc4                                        // 000000010634: BEB600FF 000000C4
	v_add_i32 v197, s54, v196                                  // 00000001063C: D29C00C5 00038836
	v_cmp_lt_i32_e64 vcc, v197, 4                              // 000000010644: D0C1006A 000109C5
	v_min_u32_e32 v197, 4, v197                                // 00000001064C: 1D8B8A84
	v_lshlrev_b32_e32 v197, 3, v197                            // 000000010650: 258B8A83
	v_lshrrev_b32_e64 v198, v197, -1                           // 000000010654: D11000C6 000183C5
	v_accvgpr_read_b32 v199, a109                              // 00000001065C: D3D840C7 1800016D
	v_cndmask_b32_e32 v199, 0, v199, vcc                       // 000000010664: 018F8E80
	v_and_b32_e32 v199, v199, v198                             // 000000010668: 278F8DC7
	v_accvgpr_write_b32 a109, v199                             // 00000001066C: D3D9406D 180001C7
	v_accvgpr_read_b32 v199, a125                              // 000000010674: D3D840C7 1800017D
	v_cndmask_b32_e32 v199, 0, v199, vcc                       // 00000001067C: 018F8E80
	v_and_b32_e32 v199, v199, v198                             // 000000010680: 278F8DC7
	v_accvgpr_write_b32 a125, v199                             // 000000010684: D3D9407D 180001C7
	s_mov_b32 s54, 0xc8                                        // 00000001068C: BEB600FF 000000C8
	v_add_i32 v197, s54, v196                                  // 000000010694: D29C00C5 00038836
	v_cmp_lt_i32_e64 vcc, v197, 4                              // 00000001069C: D0C1006A 000109C5
	v_min_u32_e32 v197, 4, v197                                // 0000000106A4: 1D8B8A84
	v_lshlrev_b32_e32 v197, 3, v197                            // 0000000106A8: 258B8A83
	v_lshrrev_b32_e64 v198, v197, -1                           // 0000000106AC: D11000C6 000183C5
	v_accvgpr_read_b32 v199, a110                              // 0000000106B4: D3D840C7 1800016E
	v_cndmask_b32_e32 v199, 0, v199, vcc                       // 0000000106BC: 018F8E80
	v_and_b32_e32 v199, v199, v198                             // 0000000106C0: 278F8DC7
	v_accvgpr_write_b32 a110, v199                             // 0000000106C4: D3D9406E 180001C7
	v_accvgpr_read_b32 v199, a126                              // 0000000106CC: D3D840C7 1800017E
	v_cndmask_b32_e32 v199, 0, v199, vcc                       // 0000000106D4: 018F8E80
	v_and_b32_e32 v199, v199, v198                             // 0000000106D8: 278F8DC7
	v_accvgpr_write_b32 a126, v199                             // 0000000106DC: D3D9407E 180001C7
	s_mov_b32 s54, 0xcc                                        // 0000000106E4: BEB600FF 000000CC
	v_add_i32 v197, s54, v196                                  // 0000000106EC: D29C00C5 00038836
	v_cmp_lt_i32_e64 vcc, v197, 4                              // 0000000106F4: D0C1006A 000109C5
	v_min_u32_e32 v197, 4, v197                                // 0000000106FC: 1D8B8A84
	v_lshlrev_b32_e32 v197, 3, v197                            // 000000010700: 258B8A83
	v_lshrrev_b32_e64 v198, v197, -1                           // 000000010704: D11000C6 000183C5
	v_accvgpr_read_b32 v199, a111                              // 00000001070C: D3D840C7 1800016F
	v_cndmask_b32_e32 v199, 0, v199, vcc                       // 000000010714: 018F8E80
	v_and_b32_e32 v199, v199, v198                             // 000000010718: 278F8DC7
	v_accvgpr_write_b32 a111, v199                             // 00000001071C: D3D9406F 180001C7
	v_accvgpr_read_b32 v199, a127                              // 000000010724: D3D840C7 1800017F
	v_cndmask_b32_e32 v199, 0, v199, vcc                       // 00000001072C: 018F8E80
	v_and_b32_e32 v199, v199, v198                             // 000000010730: 278F8DC7
	v_accvgpr_write_b32 a127, v199                             // 000000010734: D3D9407F 180001C7
	s_waitcnt vmcnt(63) expcnt(7) lgkmcnt(15)                  // 00000001073C: BF8CCF7F
	v_mfma_f32_16x16x32_fp8_fp8 v[68:71], a[96:97], v[4:5], 0  // 000000010740: D3F30044 0A020960
	s_lshl_b32 s68, s76, 2                                     // 000000010748: 8E44824C
	v_mfma_f32_16x16x32_fp8_fp8 v[72:75], a[112:113], v[4:5], 0// 00000001074C: D3F30048 0A020970
	s_cmp_lt_u32 s76, s77                                      // 000000010754: BF0A4D4C
	s_cselect_b32 s68, s68, 0                                  // 000000010758: 85448044
	v_mfma_f32_16x16x32_fp8_fp8 v[68:71], a[98:99], v[6:7], v[68:71]// 00000001075C: D3F30044 0D120D62
	buffer_load_dwordx4 a[128:131], v227, s[16:19], 0 offen    // 000000010764: E05C1000 808480E3
	v_mfma_f32_16x16x32_fp8_fp8 v[72:75], a[114:115], v[6:7], v[72:75]// 00000001076C: D3F30048 0D220D72
	s_addk_i32 s76, 0x1                                        // 000000010774: B74C0001
	s_waitcnt lgkmcnt(14)                                      // 000000010778: BF8CCE7F
	v_mfma_f32_16x16x32_fp8_fp8 v[68:71], a[100:101], v[8:9], v[68:71]// 00000001077C: D3F30044 0D121164
	v_mfma_f32_16x16x32_fp8_fp8 v[72:75], a[116:117], v[8:9], v[72:75]// 000000010784: D3F30048 0D221174
	v_mfma_f32_16x16x32_fp8_fp8 v[68:71], a[102:103], v[10:11], v[68:71]// 00000001078C: D3F30044 0D121566
	buffer_load_dwordx4 a[132:135], v228, s[16:19], 0 offen    // 000000010794: E05C1000 808484E4
	v_mfma_f32_16x16x32_fp8_fp8 v[72:75], a[118:119], v[10:11], v[72:75]// 00000001079C: D3F30048 0D221576
	s_waitcnt lgkmcnt(13)                                      // 0000000107A4: BF8CCD7F
	v_mfma_f32_16x16x32_fp8_fp8 v[68:71], a[104:105], v[12:13], v[68:71]// 0000000107A8: D3F30044 0D121968
	v_mfma_f32_16x16x32_fp8_fp8 v[72:75], a[120:121], v[12:13], v[72:75]// 0000000107B0: D3F30048 0D221978
	v_mfma_f32_16x16x32_fp8_fp8 v[68:71], a[106:107], v[14:15], v[68:71]// 0000000107B8: D3F30044 0D121D6A
	buffer_load_dwordx4 a[136:139], v229, s[16:19], 0 offen    // 0000000107C0: E05C1000 808488E5
	v_mfma_f32_16x16x32_fp8_fp8 v[72:75], a[122:123], v[14:15], v[72:75]// 0000000107C8: D3F30048 0D221D7A
	s_waitcnt lgkmcnt(12)                                      // 0000000107D0: BF8CCC7F
	v_mfma_f32_16x16x32_fp8_fp8 v[68:71], a[108:109], v[16:17], v[68:71]// 0000000107D4: D3F30044 0D12216C
	v_mfma_f32_16x16x32_fp8_fp8 v[72:75], a[124:125], v[16:17], v[72:75]// 0000000107DC: D3F30048 0D22217C
	v_mfma_f32_16x16x32_fp8_fp8 v[68:71], a[110:111], v[18:19], v[68:71]// 0000000107E4: D3F30044 0D12256E
	buffer_load_dwordx4 a[140:143], v230, s[16:19], 0 offen    // 0000000107EC: E05C1000 80848CE6
	v_mfma_f32_16x16x32_fp8_fp8 v[72:75], a[126:127], v[18:19], v[72:75]// 0000000107F4: D3F30048 0D22257E
	s_waitcnt lgkmcnt(11)                                      // 0000000107FC: BF8CCB7F
	v_mfma_f32_16x16x32_fp8_fp8 v[76:79], a[96:97], v[20:21], 0// 000000010800: D3F3004C 0A022960
	v_mfma_f32_16x16x32_fp8_fp8 v[80:83], a[112:113], v[20:21], 0// 000000010808: D3F30050 0A022970
	v_mfma_f32_16x16x32_fp8_fp8 v[76:79], a[98:99], v[22:23], v[76:79]// 000000010810: D3F3004C 0D322D62
	buffer_load_dwordx4 a[144:147], v227, s[16:19], 0 offen offset:1024// 000000010818: E05C1400 808490E3
	v_mfma_f32_16x16x32_fp8_fp8 v[80:83], a[114:115], v[22:23], v[80:83]// 000000010820: D3F30050 0D422D72
	s_waitcnt lgkmcnt(10)                                      // 000000010828: BF8CCA7F
	v_mfma_f32_16x16x32_fp8_fp8 v[76:79], a[100:101], v[24:25], v[76:79]// 00000001082C: D3F3004C 0D323164
	v_mfma_f32_16x16x32_fp8_fp8 v[80:83], a[116:117], v[24:25], v[80:83]// 000000010834: D3F30050 0D423174
	v_mfma_f32_16x16x32_fp8_fp8 v[76:79], a[102:103], v[26:27], v[76:79]// 00000001083C: D3F3004C 0D323566
	buffer_load_dwordx4 a[148:151], v228, s[16:19], 0 offen offset:1024// 000000010844: E05C1400 808494E4
	v_mfma_f32_16x16x32_fp8_fp8 v[80:83], a[118:119], v[26:27], v[80:83]// 00000001084C: D3F30050 0D423576
	s_waitcnt lgkmcnt(9)                                       // 000000010854: BF8CC97F
	v_mfma_f32_16x16x32_fp8_fp8 v[76:79], a[104:105], v[28:29], v[76:79]// 000000010858: D3F3004C 0D323968
	v_mfma_f32_16x16x32_fp8_fp8 v[80:83], a[120:121], v[28:29], v[80:83]// 000000010860: D3F30050 0D423978
	v_mfma_f32_16x16x32_fp8_fp8 v[76:79], a[106:107], v[30:31], v[76:79]// 000000010868: D3F3004C 0D323D6A
	buffer_load_dwordx4 a[152:155], v229, s[16:19], 0 offen offset:1024// 000000010870: E05C1400 808498E5
	v_mfma_f32_16x16x32_fp8_fp8 v[80:83], a[122:123], v[30:31], v[80:83]// 000000010878: D3F30050 0D423D7A
	s_waitcnt lgkmcnt(8)                                       // 000000010880: BF8CC87F
	v_mfma_f32_16x16x32_fp8_fp8 v[76:79], a[108:109], v[32:33], v[76:79]// 000000010884: D3F3004C 0D32416C
	v_mfma_f32_16x16x32_fp8_fp8 v[80:83], a[124:125], v[32:33], v[80:83]// 00000001088C: D3F30050 0D42417C
	v_mfma_f32_16x16x32_fp8_fp8 v[76:79], a[110:111], v[34:35], v[76:79]// 000000010894: D3F3004C 0D32456E
	buffer_load_dwordx4 a[156:159], v230, s[16:19], 0 offen offset:1024// 00000001089C: E05C1400 80849CE6
	v_mfma_f32_16x16x32_fp8_fp8 v[80:83], a[126:127], v[34:35], v[80:83]// 0000000108A4: D3F30050 0D42457E
	s_waitcnt lgkmcnt(7)                                       // 0000000108AC: BF8CC77F
	v_mfma_f32_16x16x32_fp8_fp8 v[84:87], a[96:97], v[36:37], 0// 0000000108B0: D3F30054 0A024960
	v_mfma_f32_16x16x32_fp8_fp8 v[88:91], a[112:113], v[36:37], 0// 0000000108B8: D3F30058 0A024970
	v_mfma_f32_16x16x32_fp8_fp8 v[84:87], a[98:99], v[38:39], v[84:87]// 0000000108C0: D3F30054 0D524D62
	v_mfma_f32_16x16x32_fp8_fp8 v[88:91], a[114:115], v[38:39], v[88:91]// 0000000108C8: D3F30058 0D624D72
	s_waitcnt lgkmcnt(6)                                       // 0000000108D0: BF8CC67F
	v_mfma_f32_16x16x32_fp8_fp8 v[84:87], a[100:101], v[40:41], v[84:87]// 0000000108D4: D3F30054 0D525164
	v_mfma_f32_16x16x32_fp8_fp8 v[88:91], a[116:117], v[40:41], v[88:91]// 0000000108DC: D3F30058 0D625174
	v_mfma_f32_16x16x32_fp8_fp8 v[84:87], a[102:103], v[42:43], v[84:87]// 0000000108E4: D3F30054 0D525566
	v_mfma_f32_16x16x32_fp8_fp8 v[88:91], a[118:119], v[42:43], v[88:91]// 0000000108EC: D3F30058 0D625576
	s_waitcnt lgkmcnt(5)                                       // 0000000108F4: BF8CC57F
	v_mfma_f32_16x16x32_fp8_fp8 v[84:87], a[104:105], v[44:45], v[84:87]// 0000000108F8: D3F30054 0D525968
	v_mfma_f32_16x16x32_fp8_fp8 v[88:91], a[120:121], v[44:45], v[88:91]// 000000010900: D3F30058 0D625978
	v_mfma_f32_16x16x32_fp8_fp8 v[84:87], a[106:107], v[46:47], v[84:87]// 000000010908: D3F30054 0D525D6A
	v_mfma_f32_16x16x32_fp8_fp8 v[88:91], a[122:123], v[46:47], v[88:91]// 000000010910: D3F30058 0D625D7A
	s_waitcnt lgkmcnt(4)                                       // 000000010918: BF8CC47F
	v_mfma_f32_16x16x32_fp8_fp8 v[84:87], a[108:109], v[48:49], v[84:87]// 00000001091C: D3F30054 0D52616C
	v_mfma_f32_16x16x32_fp8_fp8 v[88:91], a[124:125], v[48:49], v[88:91]// 000000010924: D3F30058 0D62617C
	v_mfma_f32_16x16x32_fp8_fp8 v[84:87], a[110:111], v[50:51], v[84:87]// 00000001092C: D3F30054 0D52656E
	v_mfma_f32_16x16x32_fp8_fp8 v[88:91], a[126:127], v[50:51], v[88:91]// 000000010934: D3F30058 0D62657E
	s_waitcnt lgkmcnt(3)                                       // 00000001093C: BF8CC37F
	v_mfma_f32_16x16x32_fp8_fp8 v[92:95], a[96:97], v[52:53], 0// 000000010940: D3F3005C 0A026960
	v_mfma_f32_16x16x32_fp8_fp8 v[96:99], a[112:113], v[52:53], 0// 000000010948: D3F30060 0A026970
	v_mfma_f32_16x16x32_fp8_fp8 v[92:95], a[98:99], v[54:55], v[92:95]// 000000010950: D3F3005C 0D726D62
	v_mfma_f32_16x16x32_fp8_fp8 v[96:99], a[114:115], v[54:55], v[96:99]// 000000010958: D3F30060 0D826D72
	s_waitcnt lgkmcnt(2)                                       // 000000010960: BF8CC27F
	v_mfma_f32_16x16x32_fp8_fp8 v[92:95], a[100:101], v[56:57], v[92:95]// 000000010964: D3F3005C 0D727164
	v_mfma_f32_16x16x32_fp8_fp8 v[96:99], a[116:117], v[56:57], v[96:99]// 00000001096C: D3F30060 0D827174
	v_mfma_f32_16x16x32_fp8_fp8 v[92:95], a[102:103], v[58:59], v[92:95]// 000000010974: D3F3005C 0D727566
	v_mfma_f32_16x16x32_fp8_fp8 v[96:99], a[118:119], v[58:59], v[96:99]// 00000001097C: D3F30060 0D827576
	s_waitcnt lgkmcnt(1)                                       // 000000010984: BF8CC17F
	v_mfma_f32_16x16x32_fp8_fp8 v[92:95], a[104:105], v[60:61], v[92:95]// 000000010988: D3F3005C 0D727968
	v_mfma_f32_16x16x32_fp8_fp8 v[96:99], a[120:121], v[60:61], v[96:99]// 000000010990: D3F30060 0D827978
	v_mfma_f32_16x16x32_fp8_fp8 v[92:95], a[106:107], v[62:63], v[92:95]// 000000010998: D3F3005C 0D727D6A
	v_mfma_f32_16x16x32_fp8_fp8 v[96:99], a[122:123], v[62:63], v[96:99]// 0000000109A0: D3F30060 0D827D7A
	s_waitcnt lgkmcnt(0)                                       // 0000000109A8: BF8CC07F
	v_mfma_f32_16x16x32_fp8_fp8 v[92:95], a[108:109], v[64:65], v[92:95]// 0000000109AC: D3F3005C 0D72816C
	v_mfma_f32_16x16x32_fp8_fp8 v[96:99], a[124:125], v[64:65], v[96:99]// 0000000109B4: D3F30060 0D82817C
	v_mfma_f32_16x16x32_fp8_fp8 v[92:95], a[110:111], v[66:67], v[92:95]// 0000000109BC: D3F3005C 0D72856E
	v_mfma_f32_16x16x32_fp8_fp8 v[96:99], a[126:127], v[66:67], v[96:99]// 0000000109C4: D3F30060 0D82857E
	s_load_dword s59, s[42:43], s68                            // 0000000109CC: C0000ED5 00000044
	s_addk_i32 s64, 0x100                                      // 0000000109D4: B7400100

00000000000109d8 <label_38F6>:
	s_cmp_lt_i32 s64, s62                                      // 0000000109D8: BF043E40
	s_cbranch_scc0 label_5418                                  // 0000000109DC: BF841B20
	s_waitcnt vmcnt(10)                                        // 0000000109E0: BF8C0F7A
	v_mfma_f32_16x16x32_fp8_fp8 v[4:7], a[64:65], a[0:1], 0    // 0000000109E4: D3F30004 1A020140
	s_add_u32 s12, s86, s69                                    // 0000000109EC: 800C4556
	s_addc_u32 s13, s87, 0                                     // 0000000109F0: 820D8057
	v_mfma_f32_16x16x32_fp8_fp8 v[4:7], a[66:67], a[2:3], v[4:7]// 0000000109F4: D3F30004 1C120542
	s_add_u32 s16, s88, s70                                    // 0000000109FC: 80104658
	s_addc_u32 s17, s89, 0                                     // 000000010A00: 82118059
	v_mfma_f32_16x16x32_fp8_fp8 v[4:7], a[68:69], a[4:5], v[4:7]// 000000010A04: D3F30004 1C120944
	buffer_load_dwordx4 a[32:35], v225, s[12:15], 0 offen      // 000000010A0C: E05C1000 808320E1
	v_mfma_f32_16x16x32_fp8_fp8 v[4:7], a[70:71], a[6:7], v[4:7]// 000000010A14: D3F30004 1C120D46
	s_add_u32 s20, s90, s71                                    // 000000010A1C: 8014475A
	s_addc_u32 s21, s91, 0                                     // 000000010A20: 8215805B
	v_mfma_f32_16x16x32_fp8_fp8 v[8:11], a[72:73], a[0:1], 0   // 000000010A24: D3F30008 1A020148
	s_add_u32 s24, s92, s71                                    // 000000010A2C: 8018475C
	s_addc_u32 s25, s93, 0                                     // 000000010A30: 8219805D
	v_mfma_f32_16x16x32_fp8_fp8 v[8:11], a[74:75], a[2:3], v[8:11]// 000000010A34: D3F30008 1C22054A
	s_add_u32 s69, s69, 0x1000                                 // 000000010A3C: 8045FF45 00001000
	s_add_u32 s70, s70, 0x8000                                 // 000000010A44: 8046FF46 00008000
	v_mfma_f32_16x16x32_fp8_fp8 v[8:11], a[76:77], a[4:5], v[8:11]// 000000010A4C: D3F30008 1C22094C
	buffer_load_dwordx4 a[36:39], v226, s[12:15], 0 offen      // 000000010A54: E05C1000 808324E2
	v_mfma_f32_16x16x32_fp8_fp8 v[8:11], a[78:79], a[6:7], v[8:11]// 000000010A5C: D3F30008 1C220D4E
	v_mfma_f32_16x16x32_fp8_fp8 v[12:15], a[80:81], a[0:1], 0  // 000000010A64: D3F3000C 1A020150
	v_mfma_f32_16x16x32_fp8_fp8 v[12:15], a[82:83], a[2:3], v[12:15]// 000000010A6C: D3F3000C 1C320552
	v_mfma_f32_16x16x32_fp8_fp8 v[12:15], a[84:85], a[4:5], v[12:15]// 000000010A74: D3F3000C 1C320954
	buffer_load_dwordx4 a[40:43], v225, s[12:15], 0 offen offset:1024// 000000010A7C: E05C1400 808328E1
	v_mfma_f32_16x16x32_fp8_fp8 v[12:15], a[86:87], a[6:7], v[12:15]// 000000010A84: D3F3000C 1C320D56
	v_mfma_f32_16x16x32_fp8_fp8 v[16:19], a[88:89], a[0:1], 0  // 000000010A8C: D3F30010 1A020158
	v_mfma_f32_16x16x32_fp8_fp8 v[16:19], a[90:91], a[2:3], v[16:19]// 000000010A94: D3F30010 1C42055A
	v_mfma_f32_16x16x32_fp8_fp8 v[16:19], a[92:93], a[4:5], v[16:19]// 000000010A9C: D3F30010 1C42095C
	buffer_load_dwordx4 a[44:47], v226, s[12:15], 0 offen offset:1024// 000000010AA4: E05C1400 80832CE2
	v_mfma_f32_16x16x32_fp8_fp8 v[16:19], a[94:95], a[6:7], v[16:19]// 000000010AAC: D3F30010 1C420D5E
	v_mfma_f32_16x16x32_fp8_fp8 v[20:23], a[64:65], a[8:9], 0  // 000000010AB4: D3F30014 1A021140
	v_mfma_f32_16x16x32_fp8_fp8 v[20:23], a[66:67], a[10:11], v[20:23]// 000000010ABC: D3F30014 1C521542
	v_mfma_f32_16x16x32_fp8_fp8 v[20:23], a[68:69], a[12:13], v[20:23]// 000000010AC4: D3F30014 1C521944
	buffer_load_dwordx4 a[48:51], v225, s[12:15], 0 offen offset:2048// 000000010ACC: E05C1800 808330E1
	v_mfma_f32_16x16x32_fp8_fp8 v[20:23], a[70:71], a[14:15], v[20:23]// 000000010AD4: D3F30014 1C521D46
	v_mfma_f32_16x16x32_fp8_fp8 v[24:27], a[72:73], a[8:9], 0  // 000000010ADC: D3F30018 1A021148
	v_mfma_f32_16x16x32_fp8_fp8 v[24:27], a[74:75], a[10:11], v[24:27]// 000000010AE4: D3F30018 1C62154A
	v_mfma_f32_16x16x32_fp8_fp8 v[24:27], a[76:77], a[12:13], v[24:27]// 000000010AEC: D3F30018 1C62194C
	buffer_load_dwordx4 a[52:55], v226, s[12:15], 0 offen offset:2048// 000000010AF4: E05C1800 808334E2
	v_mfma_f32_16x16x32_fp8_fp8 v[24:27], a[78:79], a[14:15], v[24:27]// 000000010AFC: D3F30018 1C621D4E
	v_mfma_f32_16x16x32_fp8_fp8 v[28:31], a[80:81], a[8:9], 0  // 000000010B04: D3F3001C 1A021150
	v_mfma_f32_16x16x32_fp8_fp8 v[28:31], a[82:83], a[10:11], v[28:31]// 000000010B0C: D3F3001C 1C721552
	v_mfma_f32_16x16x32_fp8_fp8 v[28:31], a[84:85], a[12:13], v[28:31]// 000000010B14: D3F3001C 1C721954
	buffer_load_dwordx4 a[56:59], v225, s[12:15], 0 offen offset:3072// 000000010B1C: E05C1C00 808338E1
	v_mfma_f32_16x16x32_fp8_fp8 v[28:31], a[86:87], a[14:15], v[28:31]// 000000010B24: D3F3001C 1C721D56
	v_mfma_f32_16x16x32_fp8_fp8 v[32:35], a[88:89], a[8:9], 0  // 000000010B2C: D3F30020 1A021158
	v_mfma_f32_16x16x32_fp8_fp8 v[32:35], a[90:91], a[10:11], v[32:35]// 000000010B34: D3F30020 1C82155A
	v_mfma_f32_16x16x32_fp8_fp8 v[32:35], a[92:93], a[12:13], v[32:35]// 000000010B3C: D3F30020 1C82195C
	buffer_load_dwordx4 a[60:63], v226, s[12:15], 0 offen offset:3072// 000000010B44: E05C1C00 80833CE2
	v_mfma_f32_16x16x32_fp8_fp8 v[32:35], a[94:95], a[14:15], v[32:35]// 000000010B4C: D3F30020 1C821D5E
	v_mfma_f32_16x16x32_fp8_fp8 v[36:39], a[64:65], a[16:17], 0// 000000010B54: D3F30024 1A022140
	v_mfma_f32_16x16x32_fp8_fp8 v[36:39], a[66:67], a[18:19], v[36:39]// 000000010B5C: D3F30024 1C922542
	v_mfma_f32_16x16x32_fp8_fp8 v[36:39], a[68:69], a[20:21], v[36:39]// 000000010B64: D3F30024 1C922944
	v_mfma_f32_16x16x32_fp8_fp8 v[36:39], a[70:71], a[22:23], v[36:39]// 000000010B6C: D3F30024 1C922D46
	v_mfma_f32_16x16x32_fp8_fp8 v[40:43], a[72:73], a[16:17], 0// 000000010B74: D3F30028 1A022148
	v_mfma_f32_16x16x32_fp8_fp8 v[40:43], a[74:75], a[18:19], v[40:43]// 000000010B7C: D3F30028 1CA2254A
	v_mfma_f32_16x16x32_fp8_fp8 v[40:43], a[76:77], a[20:21], v[40:43]// 000000010B84: D3F30028 1CA2294C
	v_mfma_f32_16x16x32_fp8_fp8 v[40:43], a[78:79], a[22:23], v[40:43]// 000000010B8C: D3F30028 1CA22D4E
	v_mfma_f32_16x16x32_fp8_fp8 v[44:47], a[80:81], a[16:17], 0// 000000010B94: D3F3002C 1A022150
	v_mfma_f32_16x16x32_fp8_fp8 v[44:47], a[82:83], a[18:19], v[44:47]// 000000010B9C: D3F3002C 1CB22552
	v_mfma_f32_16x16x32_fp8_fp8 v[44:47], a[84:85], a[20:21], v[44:47]// 000000010BA4: D3F3002C 1CB22954
	v_mfma_f32_16x16x32_fp8_fp8 v[44:47], a[86:87], a[22:23], v[44:47]// 000000010BAC: D3F3002C 1CB22D56
	v_mfma_f32_16x16x32_fp8_fp8 v[48:51], a[88:89], a[16:17], 0// 000000010BB4: D3F30030 1A022158
	v_mfma_f32_16x16x32_fp8_fp8 v[48:51], a[90:91], a[18:19], v[48:51]// 000000010BBC: D3F30030 1CC2255A
	v_mfma_f32_16x16x32_fp8_fp8 v[48:51], a[92:93], a[20:21], v[48:51]// 000000010BC4: D3F30030 1CC2295C
	v_mfma_f32_16x16x32_fp8_fp8 v[48:51], a[94:95], a[22:23], v[48:51]// 000000010BCC: D3F30030 1CC22D5E
	v_mfma_f32_16x16x32_fp8_fp8 v[52:55], a[64:65], a[24:25], 0// 000000010BD4: D3F30034 1A023140
	v_mfma_f32_16x16x32_fp8_fp8 v[52:55], a[66:67], a[26:27], v[52:55]// 000000010BDC: D3F30034 1CD23542
	v_mfma_f32_16x16x32_fp8_fp8 v[52:55], a[68:69], a[28:29], v[52:55]// 000000010BE4: D3F30034 1CD23944
	v_mfma_f32_16x16x32_fp8_fp8 v[52:55], a[70:71], a[30:31], v[52:55]// 000000010BEC: D3F30034 1CD23D46
	v_mfma_f32_16x16x32_fp8_fp8 v[56:59], a[72:73], a[24:25], 0// 000000010BF4: D3F30038 1A023148
	v_mfma_f32_16x16x32_fp8_fp8 v[56:59], a[74:75], a[26:27], v[56:59]// 000000010BFC: D3F30038 1CE2354A
	v_mfma_f32_16x16x32_fp8_fp8 v[56:59], a[76:77], a[28:29], v[56:59]// 000000010C04: D3F30038 1CE2394C
	v_mfma_f32_16x16x32_fp8_fp8 v[56:59], a[78:79], a[30:31], v[56:59]// 000000010C0C: D3F30038 1CE23D4E
	v_mfma_f32_16x16x32_fp8_fp8 v[60:63], a[80:81], a[24:25], 0// 000000010C14: D3F3003C 1A023150
	v_mfma_f32_16x16x32_fp8_fp8 v[60:63], a[82:83], a[26:27], v[60:63]// 000000010C1C: D3F3003C 1CF23552
	v_mfma_f32_16x16x32_fp8_fp8 v[60:63], a[84:85], a[28:29], v[60:63]// 000000010C24: D3F3003C 1CF23954
	v_mfma_f32_16x16x32_fp8_fp8 v[60:63], a[86:87], a[30:31], v[60:63]// 000000010C2C: D3F3003C 1CF23D56
	v_mfma_f32_16x16x32_fp8_fp8 v[64:67], a[88:89], a[24:25], 0// 000000010C34: D3F30040 1A023158
	v_mfma_f32_16x16x32_fp8_fp8 v[64:67], a[90:91], a[26:27], v[64:67]// 000000010C3C: D3F30040 1D02355A
	v_mfma_f32_16x16x32_fp8_fp8 v[64:67], a[92:93], a[28:29], v[64:67]// 000000010C44: D3F30040 1D02395C
	v_mfma_f32_16x16x32_fp8_fp8 v[64:67], a[94:95], a[30:31], v[64:67]// 000000010C4C: D3F30040 1D023D5E
	s_waitcnt vmcnt(16)                                        // 000000010C54: BF8C4F70
	v_pk_mul_f32 v[4:5], v[132:133], v[4:5]                    // 000000010C58: D3B14004 18020984
	v_pk_mul_f32 v[6:7], v[132:133], v[6:7]                    // 000000010C60: D3B14006 18020D84
	v_mul_f32_dpp v4, v141, v4 row_newbcast:0 row_mask:0xf bank_mask:0xf// 000000010C68: 0A0808FA FF01508D
	v_mul_f32_dpp v5, v141, v5 row_newbcast:1 row_mask:0xf bank_mask:0xf// 000000010C70: 0A0A0AFA FF01518D
	v_mul_f32_dpp v6, v141, v6 row_newbcast:2 row_mask:0xf bank_mask:0xf// 000000010C78: 0A0C0CFA FF01528D
	v_mul_f32_dpp v7, v141, v7 row_newbcast:3 row_mask:0xf bank_mask:0xf// 000000010C80: 0A0E0EFA FF01538D
	v_pk_mul_f32 v[8:9], v[132:133], v[8:9]                    // 000000010C88: D3B14008 18021184
	v_pk_mul_f32 v[10:11], v[132:133], v[10:11]                // 000000010C90: D3B1400A 18021584
	v_mul_f32_dpp v8, v141, v8 row_newbcast:4 row_mask:0xf bank_mask:0xf// 000000010C98: 0A1010FA FF01548D
	v_mul_f32_dpp v9, v141, v9 row_newbcast:5 row_mask:0xf bank_mask:0xf// 000000010CA0: 0A1212FA FF01558D
	v_mul_f32_dpp v10, v141, v10 row_newbcast:6 row_mask:0xf bank_mask:0xf// 000000010CA8: 0A1414FA FF01568D
	v_mul_f32_dpp v11, v141, v11 row_newbcast:7 row_mask:0xf bank_mask:0xf// 000000010CB0: 0A1616FA FF01578D
	v_pk_mul_f32 v[12:13], v[132:133], v[12:13]                // 000000010CB8: D3B1400C 18021984
	v_pk_mul_f32 v[14:15], v[132:133], v[14:15]                // 000000010CC0: D3B1400E 18021D84
	v_mul_f32_dpp v12, v141, v12 row_newbcast:8 row_mask:0xf bank_mask:0xf// 000000010CC8: 0A1818FA FF01588D
	v_mul_f32_dpp v13, v141, v13 row_newbcast:9 row_mask:0xf bank_mask:0xf// 000000010CD0: 0A1A1AFA FF01598D
	v_mul_f32_dpp v14, v141, v14 row_newbcast:10 row_mask:0xf bank_mask:0xf// 000000010CD8: 0A1C1CFA FF015A8D
	v_mul_f32_dpp v15, v141, v15 row_newbcast:11 row_mask:0xf bank_mask:0xf// 000000010CE0: 0A1E1EFA FF015B8D
	v_pk_mul_f32 v[16:17], v[132:133], v[16:17]                // 000000010CE8: D3B14010 18022184
	v_pk_mul_f32 v[18:19], v[132:133], v[18:19]                // 000000010CF0: D3B14012 18022584
	v_mul_f32_dpp v16, v141, v16 row_newbcast:12 row_mask:0xf bank_mask:0xf// 000000010CF8: 0A2020FA FF015C8D
	v_mul_f32_dpp v17, v141, v17 row_newbcast:13 row_mask:0xf bank_mask:0xf// 000000010D00: 0A2222FA FF015D8D
	v_mul_f32_dpp v18, v141, v18 row_newbcast:14 row_mask:0xf bank_mask:0xf// 000000010D08: 0A2424FA FF015E8D
	v_mul_f32_dpp v19, v141, v19 row_newbcast:15 row_mask:0xf bank_mask:0xf// 000000010D10: 0A2626FA FF015F8D
	v_pk_mul_f32 v[20:21], v[134:135], v[20:21]                // 000000010D18: D3B14014 18022986
	v_pk_mul_f32 v[22:23], v[134:135], v[22:23]                // 000000010D20: D3B14016 18022D86
	v_mul_f32_dpp v20, v141, v20 row_newbcast:0 row_mask:0xf bank_mask:0xf// 000000010D28: 0A2828FA FF01508D
	v_mul_f32_dpp v21, v141, v21 row_newbcast:1 row_mask:0xf bank_mask:0xf// 000000010D30: 0A2A2AFA FF01518D
	v_mul_f32_dpp v22, v141, v22 row_newbcast:2 row_mask:0xf bank_mask:0xf// 000000010D38: 0A2C2CFA FF01528D
	v_mul_f32_dpp v23, v141, v23 row_newbcast:3 row_mask:0xf bank_mask:0xf// 000000010D40: 0A2E2EFA FF01538D
	v_pk_mul_f32 v[24:25], v[134:135], v[24:25]                // 000000010D48: D3B14018 18023186
	v_pk_mul_f32 v[26:27], v[134:135], v[26:27]                // 000000010D50: D3B1401A 18023586
	v_mul_f32_dpp v24, v141, v24 row_newbcast:4 row_mask:0xf bank_mask:0xf// 000000010D58: 0A3030FA FF01548D
	v_mul_f32_dpp v25, v141, v25 row_newbcast:5 row_mask:0xf bank_mask:0xf// 000000010D60: 0A3232FA FF01558D
	v_mul_f32_dpp v26, v141, v26 row_newbcast:6 row_mask:0xf bank_mask:0xf// 000000010D68: 0A3434FA FF01568D
	v_mul_f32_dpp v27, v141, v27 row_newbcast:7 row_mask:0xf bank_mask:0xf// 000000010D70: 0A3636FA FF01578D
	v_pk_mul_f32 v[28:29], v[134:135], v[28:29]                // 000000010D78: D3B1401C 18023986
	v_pk_mul_f32 v[30:31], v[134:135], v[30:31]                // 000000010D80: D3B1401E 18023D86
	v_mul_f32_dpp v28, v141, v28 row_newbcast:8 row_mask:0xf bank_mask:0xf// 000000010D88: 0A3838FA FF01588D
	v_mul_f32_dpp v29, v141, v29 row_newbcast:9 row_mask:0xf bank_mask:0xf// 000000010D90: 0A3A3AFA FF01598D
	v_mul_f32_dpp v30, v141, v30 row_newbcast:10 row_mask:0xf bank_mask:0xf// 000000010D98: 0A3C3CFA FF015A8D
	v_mul_f32_dpp v31, v141, v31 row_newbcast:11 row_mask:0xf bank_mask:0xf// 000000010DA0: 0A3E3EFA FF015B8D
	v_pk_mul_f32 v[32:33], v[134:135], v[32:33]                // 000000010DA8: D3B14020 18024186
	v_pk_mul_f32 v[34:35], v[134:135], v[34:35]                // 000000010DB0: D3B14022 18024586
	v_mul_f32_dpp v32, v141, v32 row_newbcast:12 row_mask:0xf bank_mask:0xf// 000000010DB8: 0A4040FA FF015C8D
	v_mul_f32_dpp v33, v141, v33 row_newbcast:13 row_mask:0xf bank_mask:0xf// 000000010DC0: 0A4242FA FF015D8D
	v_mul_f32_dpp v34, v141, v34 row_newbcast:14 row_mask:0xf bank_mask:0xf// 000000010DC8: 0A4444FA FF015E8D
	v_mul_f32_dpp v35, v141, v35 row_newbcast:15 row_mask:0xf bank_mask:0xf// 000000010DD0: 0A4646FA FF015F8D
	v_pk_mul_f32 v[36:37], v[136:137], v[36:37]                // 000000010DD8: D3B14024 18024988
	v_pk_mul_f32 v[38:39], v[136:137], v[38:39]                // 000000010DE0: D3B14026 18024D88
	v_mul_f32_dpp v36, v141, v36 row_newbcast:0 row_mask:0xf bank_mask:0xf// 000000010DE8: 0A4848FA FF01508D
	v_mul_f32_dpp v37, v141, v37 row_newbcast:1 row_mask:0xf bank_mask:0xf// 000000010DF0: 0A4A4AFA FF01518D
	v_mul_f32_dpp v38, v141, v38 row_newbcast:2 row_mask:0xf bank_mask:0xf// 000000010DF8: 0A4C4CFA FF01528D
	v_mul_f32_dpp v39, v141, v39 row_newbcast:3 row_mask:0xf bank_mask:0xf// 000000010E00: 0A4E4EFA FF01538D
	v_pk_mul_f32 v[40:41], v[136:137], v[40:41]                // 000000010E08: D3B14028 18025188
	v_pk_mul_f32 v[42:43], v[136:137], v[42:43]                // 000000010E10: D3B1402A 18025588
	v_mul_f32_dpp v40, v141, v40 row_newbcast:4 row_mask:0xf bank_mask:0xf// 000000010E18: 0A5050FA FF01548D
	v_mul_f32_dpp v41, v141, v41 row_newbcast:5 row_mask:0xf bank_mask:0xf// 000000010E20: 0A5252FA FF01558D
	v_mul_f32_dpp v42, v141, v42 row_newbcast:6 row_mask:0xf bank_mask:0xf// 000000010E28: 0A5454FA FF01568D
	v_mul_f32_dpp v43, v141, v43 row_newbcast:7 row_mask:0xf bank_mask:0xf// 000000010E30: 0A5656FA FF01578D
	v_pk_mul_f32 v[44:45], v[136:137], v[44:45]                // 000000010E38: D3B1402C 18025988
	v_pk_mul_f32 v[46:47], v[136:137], v[46:47]                // 000000010E40: D3B1402E 18025D88
	v_mul_f32_dpp v44, v141, v44 row_newbcast:8 row_mask:0xf bank_mask:0xf// 000000010E48: 0A5858FA FF01588D
	v_mul_f32_dpp v45, v141, v45 row_newbcast:9 row_mask:0xf bank_mask:0xf// 000000010E50: 0A5A5AFA FF01598D
	v_mul_f32_dpp v46, v141, v46 row_newbcast:10 row_mask:0xf bank_mask:0xf// 000000010E58: 0A5C5CFA FF015A8D
	v_mul_f32_dpp v47, v141, v47 row_newbcast:11 row_mask:0xf bank_mask:0xf// 000000010E60: 0A5E5EFA FF015B8D
	v_pk_mul_f32 v[48:49], v[136:137], v[48:49]                // 000000010E68: D3B14030 18026188
	v_pk_mul_f32 v[50:51], v[136:137], v[50:51]                // 000000010E70: D3B14032 18026588
	v_mul_f32_dpp v48, v141, v48 row_newbcast:12 row_mask:0xf bank_mask:0xf// 000000010E78: 0A6060FA FF015C8D
	v_mul_f32_dpp v49, v141, v49 row_newbcast:13 row_mask:0xf bank_mask:0xf// 000000010E80: 0A6262FA FF015D8D
	v_mul_f32_dpp v50, v141, v50 row_newbcast:14 row_mask:0xf bank_mask:0xf// 000000010E88: 0A6464FA FF015E8D
	v_mul_f32_dpp v51, v141, v51 row_newbcast:15 row_mask:0xf bank_mask:0xf// 000000010E90: 0A6666FA FF015F8D
	v_pk_mul_f32 v[52:53], v[138:139], v[52:53]                // 000000010E98: D3B14034 1802698A
	v_pk_mul_f32 v[54:55], v[138:139], v[54:55]                // 000000010EA0: D3B14036 18026D8A
	v_mul_f32_dpp v52, v141, v52 row_newbcast:0 row_mask:0xf bank_mask:0xf// 000000010EA8: 0A6868FA FF01508D
	v_mul_f32_dpp v53, v141, v53 row_newbcast:1 row_mask:0xf bank_mask:0xf// 000000010EB0: 0A6A6AFA FF01518D
	v_mul_f32_dpp v54, v141, v54 row_newbcast:2 row_mask:0xf bank_mask:0xf// 000000010EB8: 0A6C6CFA FF01528D
	v_mul_f32_dpp v55, v141, v55 row_newbcast:3 row_mask:0xf bank_mask:0xf// 000000010EC0: 0A6E6EFA FF01538D
	v_pk_mul_f32 v[56:57], v[138:139], v[56:57]                // 000000010EC8: D3B14038 1802718A
	v_pk_mul_f32 v[58:59], v[138:139], v[58:59]                // 000000010ED0: D3B1403A 1802758A
	v_mul_f32_dpp v56, v141, v56 row_newbcast:4 row_mask:0xf bank_mask:0xf// 000000010ED8: 0A7070FA FF01548D
	v_mul_f32_dpp v57, v141, v57 row_newbcast:5 row_mask:0xf bank_mask:0xf// 000000010EE0: 0A7272FA FF01558D
	v_mul_f32_dpp v58, v141, v58 row_newbcast:6 row_mask:0xf bank_mask:0xf// 000000010EE8: 0A7474FA FF01568D
	v_mul_f32_dpp v59, v141, v59 row_newbcast:7 row_mask:0xf bank_mask:0xf// 000000010EF0: 0A7676FA FF01578D
	v_pk_mul_f32 v[60:61], v[138:139], v[60:61]                // 000000010EF8: D3B1403C 1802798A
	v_pk_mul_f32 v[62:63], v[138:139], v[62:63]                // 000000010F00: D3B1403E 18027D8A
	v_mul_f32_dpp v60, v141, v60 row_newbcast:8 row_mask:0xf bank_mask:0xf// 000000010F08: 0A7878FA FF01588D
	v_mul_f32_dpp v61, v141, v61 row_newbcast:9 row_mask:0xf bank_mask:0xf// 000000010F10: 0A7A7AFA FF01598D
	v_mul_f32_dpp v62, v141, v62 row_newbcast:10 row_mask:0xf bank_mask:0xf// 000000010F18: 0A7C7CFA FF015A8D
	v_mul_f32_dpp v63, v141, v63 row_newbcast:11 row_mask:0xf bank_mask:0xf// 000000010F20: 0A7E7EFA FF015B8D
	v_pk_mul_f32 v[64:65], v[138:139], v[64:65]                // 000000010F28: D3B14040 1802818A
	v_pk_mul_f32 v[66:67], v[138:139], v[66:67]                // 000000010F30: D3B14042 1802858A
	v_mul_f32_dpp v64, v141, v64 row_newbcast:12 row_mask:0xf bank_mask:0xf// 000000010F38: 0A8080FA FF015C8D
	v_mul_f32_dpp v65, v141, v65 row_newbcast:13 row_mask:0xf bank_mask:0xf// 000000010F40: 0A8282FA FF015D8D
	v_mul_f32_dpp v66, v141, v66 row_newbcast:14 row_mask:0xf bank_mask:0xf// 000000010F48: 0A8484FA FF015E8D
	v_mul_f32_dpp v67, v141, v67 row_newbcast:15 row_mask:0xf bank_mask:0xf// 000000010F50: 0A8686FA FF015F8D
	v_add_u32_e32 v196, s64, v215                              // 000000010F58: 6989AE40
	v_add_u32_e32 v197, 0, v196                                // 000000010F5C: 698B8880
	v_cmp_lt_u32_e64 s[98:99], v197, v211                      // 000000010F60: D0C90062 0003A7C5
	s_nop 0                                                    // 000000010F68: BF800000
	v_cndmask_b32_e64 v4, v216, v4, s[98:99]                   // 000000010F6C: D1000004 018A09D8
	v_add_u32_e32 v197, 1, v196                                // 000000010F74: 698B8881
	v_cmp_lt_u32_e64 s[98:99], v197, v211                      // 000000010F78: D0C90062 0003A7C5
	s_nop 0                                                    // 000000010F80: BF800000
	v_cndmask_b32_e64 v5, v216, v5, s[98:99]                   // 000000010F84: D1000005 018A0BD8
	v_add_u32_e32 v197, 2, v196                                // 000000010F8C: 698B8882
	v_cmp_lt_u32_e64 s[98:99], v197, v211                      // 000000010F90: D0C90062 0003A7C5
	s_nop 0                                                    // 000000010F98: BF800000
	v_cndmask_b32_e64 v6, v216, v6, s[98:99]                   // 000000010F9C: D1000006 018A0DD8
	v_add_u32_e32 v197, 3, v196                                // 000000010FA4: 698B8883
	v_cmp_lt_u32_e64 s[98:99], v197, v211                      // 000000010FA8: D0C90062 0003A7C5
	s_nop 0                                                    // 000000010FB0: BF800000
	v_cndmask_b32_e64 v7, v216, v7, s[98:99]                   // 000000010FB4: D1000007 018A0FD8
	v_add_u32_e32 v197, 64, v196                               // 000000010FBC: 698B88C0
	v_cmp_lt_u32_e64 s[98:99], v197, v211                      // 000000010FC0: D0C90062 0003A7C5
	s_nop 0                                                    // 000000010FC8: BF800000
	v_cndmask_b32_e64 v8, v216, v8, s[98:99]                   // 000000010FCC: D1000008 018A11D8
	v_add_u32_e32 v197, 0x41, v196                             // 000000010FD4: 698B88FF 00000041
	v_cmp_lt_u32_e64 s[98:99], v197, v211                      // 000000010FDC: D0C90062 0003A7C5
	s_nop 0                                                    // 000000010FE4: BF800000
	v_cndmask_b32_e64 v9, v216, v9, s[98:99]                   // 000000010FE8: D1000009 018A13D8
	v_add_u32_e32 v197, 0x42, v196                             // 000000010FF0: 698B88FF 00000042
	v_cmp_lt_u32_e64 s[98:99], v197, v211                      // 000000010FF8: D0C90062 0003A7C5
	s_nop 0                                                    // 000000011000: BF800000
	v_cndmask_b32_e64 v10, v216, v10, s[98:99]                 // 000000011004: D100000A 018A15D8
	v_add_u32_e32 v197, 0x43, v196                             // 00000001100C: 698B88FF 00000043
	v_cmp_lt_u32_e64 s[98:99], v197, v211                      // 000000011014: D0C90062 0003A7C5
	s_nop 0                                                    // 00000001101C: BF800000
	v_cndmask_b32_e64 v11, v216, v11, s[98:99]                 // 000000011020: D100000B 018A17D8
	v_add_u32_e32 v197, 0x80, v196                             // 000000011028: 698B88FF 00000080
	v_cmp_lt_u32_e64 s[98:99], v197, v211                      // 000000011030: D0C90062 0003A7C5
	s_nop 0                                                    // 000000011038: BF800000
	v_cndmask_b32_e64 v12, v216, v12, s[98:99]                 // 00000001103C: D100000C 018A19D8
	v_add_u32_e32 v197, 0x81, v196                             // 000000011044: 698B88FF 00000081
	v_cmp_lt_u32_e64 s[98:99], v197, v211                      // 00000001104C: D0C90062 0003A7C5
	s_nop 0                                                    // 000000011054: BF800000
	v_cndmask_b32_e64 v13, v216, v13, s[98:99]                 // 000000011058: D100000D 018A1BD8
	v_add_u32_e32 v197, 0x82, v196                             // 000000011060: 698B88FF 00000082
	v_cmp_lt_u32_e64 s[98:99], v197, v211                      // 000000011068: D0C90062 0003A7C5
	s_nop 0                                                    // 000000011070: BF800000
	v_cndmask_b32_e64 v14, v216, v14, s[98:99]                 // 000000011074: D100000E 018A1DD8
	v_add_u32_e32 v197, 0x83, v196                             // 00000001107C: 698B88FF 00000083
	v_cmp_lt_u32_e64 s[98:99], v197, v211                      // 000000011084: D0C90062 0003A7C5
	s_nop 0                                                    // 00000001108C: BF800000
	v_cndmask_b32_e64 v15, v216, v15, s[98:99]                 // 000000011090: D100000F 018A1FD8
	v_add_u32_e32 v197, 0xc0, v196                             // 000000011098: 698B88FF 000000C0
	v_cmp_lt_u32_e64 s[98:99], v197, v211                      // 0000000110A0: D0C90062 0003A7C5
	s_nop 0                                                    // 0000000110A8: BF800000
	v_cndmask_b32_e64 v16, v216, v16, s[98:99]                 // 0000000110AC: D1000010 018A21D8
	v_add_u32_e32 v197, 0xc1, v196                             // 0000000110B4: 698B88FF 000000C1
	v_cmp_lt_u32_e64 s[98:99], v197, v211                      // 0000000110BC: D0C90062 0003A7C5
	s_nop 0                                                    // 0000000110C4: BF800000
	v_cndmask_b32_e64 v17, v216, v17, s[98:99]                 // 0000000110C8: D1000011 018A23D8
	v_add_u32_e32 v197, 0xc2, v196                             // 0000000110D0: 698B88FF 000000C2
	v_cmp_lt_u32_e64 s[98:99], v197, v211                      // 0000000110D8: D0C90062 0003A7C5
	s_nop 0                                                    // 0000000110E0: BF800000
	v_cndmask_b32_e64 v18, v216, v18, s[98:99]                 // 0000000110E4: D1000012 018A25D8
	v_add_u32_e32 v197, 0xc3, v196                             // 0000000110EC: 698B88FF 000000C3
	v_cmp_lt_u32_e64 s[98:99], v197, v211                      // 0000000110F4: D0C90062 0003A7C5
	s_nop 0                                                    // 0000000110FC: BF800000
	v_cndmask_b32_e64 v19, v216, v19, s[98:99]                 // 000000011100: D1000013 018A27D8
	v_add_u32_e32 v197, 0, v196                                // 000000011108: 698B8880
	v_cmp_lt_u32_e64 s[98:99], v197, v212                      // 00000001110C: D0C90062 0003A9C5
	s_nop 0                                                    // 000000011114: BF800000
	v_cndmask_b32_e64 v20, v216, v20, s[98:99]                 // 000000011118: D1000014 018A29D8
	v_add_u32_e32 v197, 1, v196                                // 000000011120: 698B8881
	v_cmp_lt_u32_e64 s[98:99], v197, v212                      // 000000011124: D0C90062 0003A9C5
	s_nop 0                                                    // 00000001112C: BF800000
	v_cndmask_b32_e64 v21, v216, v21, s[98:99]                 // 000000011130: D1000015 018A2BD8
	v_add_u32_e32 v197, 2, v196                                // 000000011138: 698B8882
	v_cmp_lt_u32_e64 s[98:99], v197, v212                      // 00000001113C: D0C90062 0003A9C5
	s_nop 0                                                    // 000000011144: BF800000
	v_cndmask_b32_e64 v22, v216, v22, s[98:99]                 // 000000011148: D1000016 018A2DD8
	v_add_u32_e32 v197, 3, v196                                // 000000011150: 698B8883
	v_cmp_lt_u32_e64 s[98:99], v197, v212                      // 000000011154: D0C90062 0003A9C5
	s_nop 0                                                    // 00000001115C: BF800000
	v_cndmask_b32_e64 v23, v216, v23, s[98:99]                 // 000000011160: D1000017 018A2FD8
	v_add_u32_e32 v197, 64, v196                               // 000000011168: 698B88C0
	v_cmp_lt_u32_e64 s[98:99], v197, v212                      // 00000001116C: D0C90062 0003A9C5
	s_nop 0                                                    // 000000011174: BF800000
	v_cndmask_b32_e64 v24, v216, v24, s[98:99]                 // 000000011178: D1000018 018A31D8
	v_add_u32_e32 v197, 0x41, v196                             // 000000011180: 698B88FF 00000041
	v_cmp_lt_u32_e64 s[98:99], v197, v212                      // 000000011188: D0C90062 0003A9C5
	s_nop 0                                                    // 000000011190: BF800000
	v_cndmask_b32_e64 v25, v216, v25, s[98:99]                 // 000000011194: D1000019 018A33D8
	v_add_u32_e32 v197, 0x42, v196                             // 00000001119C: 698B88FF 00000042
	v_cmp_lt_u32_e64 s[98:99], v197, v212                      // 0000000111A4: D0C90062 0003A9C5
	s_nop 0                                                    // 0000000111AC: BF800000
	v_cndmask_b32_e64 v26, v216, v26, s[98:99]                 // 0000000111B0: D100001A 018A35D8
	v_add_u32_e32 v197, 0x43, v196                             // 0000000111B8: 698B88FF 00000043
	v_cmp_lt_u32_e64 s[98:99], v197, v212                      // 0000000111C0: D0C90062 0003A9C5
	s_nop 0                                                    // 0000000111C8: BF800000
	v_cndmask_b32_e64 v27, v216, v27, s[98:99]                 // 0000000111CC: D100001B 018A37D8
	v_add_u32_e32 v197, 0x80, v196                             // 0000000111D4: 698B88FF 00000080
	v_cmp_lt_u32_e64 s[98:99], v197, v212                      // 0000000111DC: D0C90062 0003A9C5
	s_nop 0                                                    // 0000000111E4: BF800000
	v_cndmask_b32_e64 v28, v216, v28, s[98:99]                 // 0000000111E8: D100001C 018A39D8
	v_add_u32_e32 v197, 0x81, v196                             // 0000000111F0: 698B88FF 00000081
	v_cmp_lt_u32_e64 s[98:99], v197, v212                      // 0000000111F8: D0C90062 0003A9C5
	s_nop 0                                                    // 000000011200: BF800000
	v_cndmask_b32_e64 v29, v216, v29, s[98:99]                 // 000000011204: D100001D 018A3BD8
	v_add_u32_e32 v197, 0x82, v196                             // 00000001120C: 698B88FF 00000082
	v_cmp_lt_u32_e64 s[98:99], v197, v212                      // 000000011214: D0C90062 0003A9C5
	s_nop 0                                                    // 00000001121C: BF800000
	v_cndmask_b32_e64 v30, v216, v30, s[98:99]                 // 000000011220: D100001E 018A3DD8
	v_add_u32_e32 v197, 0x83, v196                             // 000000011228: 698B88FF 00000083
	v_cmp_lt_u32_e64 s[98:99], v197, v212                      // 000000011230: D0C90062 0003A9C5
	s_nop 0                                                    // 000000011238: BF800000
	v_cndmask_b32_e64 v31, v216, v31, s[98:99]                 // 00000001123C: D100001F 018A3FD8
	v_add_u32_e32 v197, 0xc0, v196                             // 000000011244: 698B88FF 000000C0
	v_cmp_lt_u32_e64 s[98:99], v197, v212                      // 00000001124C: D0C90062 0003A9C5
	s_nop 0                                                    // 000000011254: BF800000
	v_cndmask_b32_e64 v32, v216, v32, s[98:99]                 // 000000011258: D1000020 018A41D8
	v_add_u32_e32 v197, 0xc1, v196                             // 000000011260: 698B88FF 000000C1
	v_cmp_lt_u32_e64 s[98:99], v197, v212                      // 000000011268: D0C90062 0003A9C5
	s_nop 0                                                    // 000000011270: BF800000
	v_cndmask_b32_e64 v33, v216, v33, s[98:99]                 // 000000011274: D1000021 018A43D8
	v_add_u32_e32 v197, 0xc2, v196                             // 00000001127C: 698B88FF 000000C2
	v_cmp_lt_u32_e64 s[98:99], v197, v212                      // 000000011284: D0C90062 0003A9C5
	s_nop 0                                                    // 00000001128C: BF800000
	v_cndmask_b32_e64 v34, v216, v34, s[98:99]                 // 000000011290: D1000022 018A45D8
	v_add_u32_e32 v197, 0xc3, v196                             // 000000011298: 698B88FF 000000C3
	v_cmp_lt_u32_e64 s[98:99], v197, v212                      // 0000000112A0: D0C90062 0003A9C5
	s_nop 0                                                    // 0000000112A8: BF800000
	v_cndmask_b32_e64 v35, v216, v35, s[98:99]                 // 0000000112AC: D1000023 018A47D8
	v_add_u32_e32 v197, 0, v196                                // 0000000112B4: 698B8880
	v_cmp_lt_u32_e64 s[98:99], v197, v213                      // 0000000112B8: D0C90062 0003ABC5
	s_nop 0                                                    // 0000000112C0: BF800000
	v_cndmask_b32_e64 v36, v216, v36, s[98:99]                 // 0000000112C4: D1000024 018A49D8
	v_add_u32_e32 v197, 1, v196                                // 0000000112CC: 698B8881
	v_cmp_lt_u32_e64 s[98:99], v197, v213                      // 0000000112D0: D0C90062 0003ABC5
	s_nop 0                                                    // 0000000112D8: BF800000
	v_cndmask_b32_e64 v37, v216, v37, s[98:99]                 // 0000000112DC: D1000025 018A4BD8
	v_add_u32_e32 v197, 2, v196                                // 0000000112E4: 698B8882
	v_cmp_lt_u32_e64 s[98:99], v197, v213                      // 0000000112E8: D0C90062 0003ABC5
	s_nop 0                                                    // 0000000112F0: BF800000
	v_cndmask_b32_e64 v38, v216, v38, s[98:99]                 // 0000000112F4: D1000026 018A4DD8
	v_add_u32_e32 v197, 3, v196                                // 0000000112FC: 698B8883
	v_cmp_lt_u32_e64 s[98:99], v197, v213                      // 000000011300: D0C90062 0003ABC5
	s_nop 0                                                    // 000000011308: BF800000
	v_cndmask_b32_e64 v39, v216, v39, s[98:99]                 // 00000001130C: D1000027 018A4FD8
	v_add_u32_e32 v197, 64, v196                               // 000000011314: 698B88C0
	v_cmp_lt_u32_e64 s[98:99], v197, v213                      // 000000011318: D0C90062 0003ABC5
	s_nop 0                                                    // 000000011320: BF800000
	v_cndmask_b32_e64 v40, v216, v40, s[98:99]                 // 000000011324: D1000028 018A51D8
	v_add_u32_e32 v197, 0x41, v196                             // 00000001132C: 698B88FF 00000041
	v_cmp_lt_u32_e64 s[98:99], v197, v213                      // 000000011334: D0C90062 0003ABC5
	s_nop 0                                                    // 00000001133C: BF800000
	v_cndmask_b32_e64 v41, v216, v41, s[98:99]                 // 000000011340: D1000029 018A53D8
	v_add_u32_e32 v197, 0x42, v196                             // 000000011348: 698B88FF 00000042
	v_cmp_lt_u32_e64 s[98:99], v197, v213                      // 000000011350: D0C90062 0003ABC5
	s_nop 0                                                    // 000000011358: BF800000
	v_cndmask_b32_e64 v42, v216, v42, s[98:99]                 // 00000001135C: D100002A 018A55D8
	v_add_u32_e32 v197, 0x43, v196                             // 000000011364: 698B88FF 00000043
	v_cmp_lt_u32_e64 s[98:99], v197, v213                      // 00000001136C: D0C90062 0003ABC5
	s_nop 0                                                    // 000000011374: BF800000
	v_cndmask_b32_e64 v43, v216, v43, s[98:99]                 // 000000011378: D100002B 018A57D8
	v_add_u32_e32 v197, 0x80, v196                             // 000000011380: 698B88FF 00000080
	v_cmp_lt_u32_e64 s[98:99], v197, v213                      // 000000011388: D0C90062 0003ABC5
	s_nop 0                                                    // 000000011390: BF800000
	v_cndmask_b32_e64 v44, v216, v44, s[98:99]                 // 000000011394: D100002C 018A59D8
	v_add_u32_e32 v197, 0x81, v196                             // 00000001139C: 698B88FF 00000081
	v_cmp_lt_u32_e64 s[98:99], v197, v213                      // 0000000113A4: D0C90062 0003ABC5
	s_nop 0                                                    // 0000000113AC: BF800000
	v_cndmask_b32_e64 v45, v216, v45, s[98:99]                 // 0000000113B0: D100002D 018A5BD8
	v_add_u32_e32 v197, 0x82, v196                             // 0000000113B8: 698B88FF 00000082
	v_cmp_lt_u32_e64 s[98:99], v197, v213                      // 0000000113C0: D0C90062 0003ABC5
	s_nop 0                                                    // 0000000113C8: BF800000
	v_cndmask_b32_e64 v46, v216, v46, s[98:99]                 // 0000000113CC: D100002E 018A5DD8
	v_add_u32_e32 v197, 0x83, v196                             // 0000000113D4: 698B88FF 00000083
	v_cmp_lt_u32_e64 s[98:99], v197, v213                      // 0000000113DC: D0C90062 0003ABC5
	s_nop 0                                                    // 0000000113E4: BF800000
	v_cndmask_b32_e64 v47, v216, v47, s[98:99]                 // 0000000113E8: D100002F 018A5FD8
	v_add_u32_e32 v197, 0xc0, v196                             // 0000000113F0: 698B88FF 000000C0
	v_cmp_lt_u32_e64 s[98:99], v197, v213                      // 0000000113F8: D0C90062 0003ABC5
	s_nop 0                                                    // 000000011400: BF800000
	v_cndmask_b32_e64 v48, v216, v48, s[98:99]                 // 000000011404: D1000030 018A61D8
	v_add_u32_e32 v197, 0xc1, v196                             // 00000001140C: 698B88FF 000000C1
	v_cmp_lt_u32_e64 s[98:99], v197, v213                      // 000000011414: D0C90062 0003ABC5
	s_nop 0                                                    // 00000001141C: BF800000
	v_cndmask_b32_e64 v49, v216, v49, s[98:99]                 // 000000011420: D1000031 018A63D8
	v_add_u32_e32 v197, 0xc2, v196                             // 000000011428: 698B88FF 000000C2
	v_cmp_lt_u32_e64 s[98:99], v197, v213                      // 000000011430: D0C90062 0003ABC5
	s_nop 0                                                    // 000000011438: BF800000
	v_cndmask_b32_e64 v50, v216, v50, s[98:99]                 // 00000001143C: D1000032 018A65D8
	v_add_u32_e32 v197, 0xc3, v196                             // 000000011444: 698B88FF 000000C3
	v_cmp_lt_u32_e64 s[98:99], v197, v213                      // 00000001144C: D0C90062 0003ABC5
	s_nop 0                                                    // 000000011454: BF800000
	v_cndmask_b32_e64 v51, v216, v51, s[98:99]                 // 000000011458: D1000033 018A67D8
	v_add_u32_e32 v197, 0, v196                                // 000000011460: 698B8880
	v_cmp_lt_u32_e64 s[98:99], v197, v214                      // 000000011464: D0C90062 0003ADC5
	s_nop 0                                                    // 00000001146C: BF800000
	v_cndmask_b32_e64 v52, v216, v52, s[98:99]                 // 000000011470: D1000034 018A69D8
	v_add_u32_e32 v197, 1, v196                                // 000000011478: 698B8881
	v_cmp_lt_u32_e64 s[98:99], v197, v214                      // 00000001147C: D0C90062 0003ADC5
	s_nop 0                                                    // 000000011484: BF800000
	v_cndmask_b32_e64 v53, v216, v53, s[98:99]                 // 000000011488: D1000035 018A6BD8
	v_add_u32_e32 v197, 2, v196                                // 000000011490: 698B8882
	v_cmp_lt_u32_e64 s[98:99], v197, v214                      // 000000011494: D0C90062 0003ADC5
	s_nop 0                                                    // 00000001149C: BF800000
	v_cndmask_b32_e64 v54, v216, v54, s[98:99]                 // 0000000114A0: D1000036 018A6DD8
	v_add_u32_e32 v197, 3, v196                                // 0000000114A8: 698B8883
	v_cmp_lt_u32_e64 s[98:99], v197, v214                      // 0000000114AC: D0C90062 0003ADC5
	s_nop 0                                                    // 0000000114B4: BF800000
	v_cndmask_b32_e64 v55, v216, v55, s[98:99]                 // 0000000114B8: D1000037 018A6FD8
	v_add_u32_e32 v197, 64, v196                               // 0000000114C0: 698B88C0
	v_cmp_lt_u32_e64 s[98:99], v197, v214                      // 0000000114C4: D0C90062 0003ADC5
	s_nop 0                                                    // 0000000114CC: BF800000
	v_cndmask_b32_e64 v56, v216, v56, s[98:99]                 // 0000000114D0: D1000038 018A71D8
	v_add_u32_e32 v197, 0x41, v196                             // 0000000114D8: 698B88FF 00000041
	v_cmp_lt_u32_e64 s[98:99], v197, v214                      // 0000000114E0: D0C90062 0003ADC5
	s_nop 0                                                    // 0000000114E8: BF800000
	v_cndmask_b32_e64 v57, v216, v57, s[98:99]                 // 0000000114EC: D1000039 018A73D8
	v_add_u32_e32 v197, 0x42, v196                             // 0000000114F4: 698B88FF 00000042
	v_cmp_lt_u32_e64 s[98:99], v197, v214                      // 0000000114FC: D0C90062 0003ADC5
	s_nop 0                                                    // 000000011504: BF800000
	v_cndmask_b32_e64 v58, v216, v58, s[98:99]                 // 000000011508: D100003A 018A75D8
	v_add_u32_e32 v197, 0x43, v196                             // 000000011510: 698B88FF 00000043
	v_cmp_lt_u32_e64 s[98:99], v197, v214                      // 000000011518: D0C90062 0003ADC5
	s_nop 0                                                    // 000000011520: BF800000
	v_cndmask_b32_e64 v59, v216, v59, s[98:99]                 // 000000011524: D100003B 018A77D8
	v_add_u32_e32 v197, 0x80, v196                             // 00000001152C: 698B88FF 00000080
	v_cmp_lt_u32_e64 s[98:99], v197, v214                      // 000000011534: D0C90062 0003ADC5
	s_nop 0                                                    // 00000001153C: BF800000
	v_cndmask_b32_e64 v60, v216, v60, s[98:99]                 // 000000011540: D100003C 018A79D8
	v_add_u32_e32 v197, 0x81, v196                             // 000000011548: 698B88FF 00000081
	v_cmp_lt_u32_e64 s[98:99], v197, v214                      // 000000011550: D0C90062 0003ADC5
	s_nop 0                                                    // 000000011558: BF800000
	v_cndmask_b32_e64 v61, v216, v61, s[98:99]                 // 00000001155C: D100003D 018A7BD8
	v_add_u32_e32 v197, 0x82, v196                             // 000000011564: 698B88FF 00000082
	v_cmp_lt_u32_e64 s[98:99], v197, v214                      // 00000001156C: D0C90062 0003ADC5
	s_nop 0                                                    // 000000011574: BF800000
	v_cndmask_b32_e64 v62, v216, v62, s[98:99]                 // 000000011578: D100003E 018A7DD8
	v_add_u32_e32 v197, 0x83, v196                             // 000000011580: 698B88FF 00000083
	v_cmp_lt_u32_e64 s[98:99], v197, v214                      // 000000011588: D0C90062 0003ADC5
	s_nop 0                                                    // 000000011590: BF800000
	v_cndmask_b32_e64 v63, v216, v63, s[98:99]                 // 000000011594: D100003F 018A7FD8
	v_add_u32_e32 v197, 0xc0, v196                             // 00000001159C: 698B88FF 000000C0
	v_cmp_lt_u32_e64 s[98:99], v197, v214                      // 0000000115A4: D0C90062 0003ADC5
	s_nop 0                                                    // 0000000115AC: BF800000
	v_cndmask_b32_e64 v64, v216, v64, s[98:99]                 // 0000000115B0: D1000040 018A81D8
	v_add_u32_e32 v197, 0xc1, v196                             // 0000000115B8: 698B88FF 000000C1
	v_cmp_lt_u32_e64 s[98:99], v197, v214                      // 0000000115C0: D0C90062 0003ADC5
	s_nop 0                                                    // 0000000115C8: BF800000
	v_cndmask_b32_e64 v65, v216, v65, s[98:99]                 // 0000000115CC: D1000041 018A83D8
	v_add_u32_e32 v197, 0xc2, v196                             // 0000000115D4: 698B88FF 000000C2
	v_cmp_lt_u32_e64 s[98:99], v197, v214                      // 0000000115DC: D0C90062 0003ADC5
	s_nop 0                                                    // 0000000115E4: BF800000
	v_cndmask_b32_e64 v66, v216, v66, s[98:99]                 // 0000000115E8: D1000042 018A85D8
	v_add_u32_e32 v197, 0xc3, v196                             // 0000000115F0: 698B88FF 000000C3
	v_cmp_lt_u32_e64 s[98:99], v197, v214                      // 0000000115F8: D0C90062 0003ADC5
	s_nop 0                                                    // 000000011600: BF800000
	v_cndmask_b32_e64 v67, v216, v67, s[98:99]                 // 000000011604: D1000043 018A87D8
	v_mov_b32_e32 v176, v4                                     // 00000001160C: 7F600304
	v_max3_f32 v176, v4, v5, v176                              // 000000011610: D1D300B0 06C20B04
	v_max3_f32 v176, v6, v7, v176                              // 000000011618: D1D300B0 06C20F06
	v_max3_f32 v176, v8, v9, v176                              // 000000011620: D1D300B0 06C21308
	v_max3_f32 v176, v10, v11, v176                            // 000000011628: D1D300B0 06C2170A
	v_max3_f32 v176, v12, v13, v176                            // 000000011630: D1D300B0 06C21B0C
	v_max3_f32 v176, v14, v15, v176                            // 000000011638: D1D300B0 06C21F0E
	v_max3_f32 v176, v16, v17, v176                            // 000000011640: D1D300B0 06C22310
	v_max3_f32 v176, v18, v19, v176                            // 000000011648: D1D300B0 06C22712
	v_mov_b32_e32 v177, v20                                    // 000000011650: 7F620314
	v_max3_f32 v177, v20, v21, v177                            // 000000011654: D1D300B1 06C62B14
	v_max3_f32 v177, v22, v23, v177                            // 00000001165C: D1D300B1 06C62F16
	v_max3_f32 v177, v24, v25, v177                            // 000000011664: D1D300B1 06C63318
	v_max3_f32 v177, v26, v27, v177                            // 00000001166C: D1D300B1 06C6371A
	v_max3_f32 v177, v28, v29, v177                            // 000000011674: D1D300B1 06C63B1C
	v_max3_f32 v177, v30, v31, v177                            // 00000001167C: D1D300B1 06C63F1E
	v_max3_f32 v177, v32, v33, v177                            // 000000011684: D1D300B1 06C64320
	v_max3_f32 v177, v34, v35, v177                            // 00000001168C: D1D300B1 06C64722
	v_mov_b32_e32 v178, v36                                    // 000000011694: 7F640324
	v_max3_f32 v178, v36, v37, v178                            // 000000011698: D1D300B2 06CA4B24
	v_max3_f32 v178, v38, v39, v178                            // 0000000116A0: D1D300B2 06CA4F26
	v_max3_f32 v178, v40, v41, v178                            // 0000000116A8: D1D300B2 06CA5328
	v_max3_f32 v178, v42, v43, v178                            // 0000000116B0: D1D300B2 06CA572A
	v_max3_f32 v178, v44, v45, v178                            // 0000000116B8: D1D300B2 06CA5B2C
	v_max3_f32 v178, v46, v47, v178                            // 0000000116C0: D1D300B2 06CA5F2E
	v_max3_f32 v178, v48, v49, v178                            // 0000000116C8: D1D300B2 06CA6330
	v_max3_f32 v178, v50, v51, v178                            // 0000000116D0: D1D300B2 06CA6732
	v_mov_b32_e32 v179, v52                                    // 0000000116D8: 7F660334
	v_max3_f32 v179, v52, v53, v179                            // 0000000116DC: D1D300B3 06CE6B34
	v_max3_f32 v179, v54, v55, v179                            // 0000000116E4: D1D300B3 06CE6F36
	v_max3_f32 v179, v56, v57, v179                            // 0000000116EC: D1D300B3 06CE7338
	v_max3_f32 v179, v58, v59, v179                            // 0000000116F4: D1D300B3 06CE773A
	v_max3_f32 v179, v60, v61, v179                            // 0000000116FC: D1D300B3 06CE7B3C
	v_max3_f32 v179, v62, v63, v179                            // 000000011704: D1D300B3 06CE7F3E
	v_max3_f32 v179, v64, v65, v179                            // 00000001170C: D1D300B3 06CE8340
	v_max3_f32 v179, v66, v67, v179                            // 000000011714: D1D300B3 06CE8742
	ds_bpermute_b32 v180, v200, v176                           // 00000001171C: D87E0000 B400B0C8
	ds_bpermute_b32 v181, v201, v176                           // 000000011724: D87E0000 B500B0C9
	ds_bpermute_b32 v182, v202, v176                           // 00000001172C: D87E0000 B600B0CA
	ds_bpermute_b32 v183, v200, v177                           // 000000011734: D87E0000 B700B1C8
	ds_bpermute_b32 v184, v201, v177                           // 00000001173C: D87E0000 B800B1C9
	ds_bpermute_b32 v185, v202, v177                           // 000000011744: D87E0000 B900B1CA
	ds_bpermute_b32 v186, v200, v178                           // 00000001174C: D87E0000 BA00B2C8
	ds_bpermute_b32 v187, v201, v178                           // 000000011754: D87E0000 BB00B2C9
	ds_bpermute_b32 v188, v202, v178                           // 00000001175C: D87E0000 BC00B2CA
	ds_bpermute_b32 v189, v200, v179                           // 000000011764: D87E0000 BD00B3C8
	ds_bpermute_b32 v190, v201, v179                           // 00000001176C: D87E0000 BE00B3C9
	ds_bpermute_b32 v191, v202, v179                           // 000000011774: D87E0000 BF00B3CA
	v_pk_mul_f32 v[100:101], v[160:161], v[100:101]            // 00000001177C: D3B14064 1802C9A0
	v_pk_mul_f32 v[102:103], v[160:161], v[102:103]            // 000000011784: D3B14066 1802CDA0
	v_pk_mul_f32 v[104:105], v[160:161], v[104:105]            // 00000001178C: D3B14068 1802D1A0
	v_pk_mul_f32 v[106:107], v[160:161], v[106:107]            // 000000011794: D3B1406A 1802D5A0
	v_pk_mul_f32 v[108:109], v[162:163], v[108:109]            // 00000001179C: D3B1406C 1802D9A2
	v_pk_mul_f32 v[110:111], v[162:163], v[110:111]            // 0000000117A4: D3B1406E 1802DDA2
	v_pk_mul_f32 v[112:113], v[162:163], v[112:113]            // 0000000117AC: D3B14070 1802E1A2
	v_pk_mul_f32 v[114:115], v[162:163], v[114:115]            // 0000000117B4: D3B14072 1802E5A2
	v_pk_mul_f32 v[116:117], v[164:165], v[116:117]            // 0000000117BC: D3B14074 1802E9A4
	v_pk_mul_f32 v[118:119], v[164:165], v[118:119]            // 0000000117C4: D3B14076 1802EDA4
	v_pk_mul_f32 v[120:121], v[164:165], v[120:121]            // 0000000117CC: D3B14078 1802F1A4
	v_pk_mul_f32 v[122:123], v[164:165], v[122:123]            // 0000000117D4: D3B1407A 1802F5A4
	v_pk_mul_f32 v[124:125], v[166:167], v[124:125]            // 0000000117DC: D3B1407C 1802F9A6
	v_pk_mul_f32 v[126:127], v[166:167], v[126:127]            // 0000000117E4: D3B1407E 1802FDA6
	v_pk_mul_f32 v[128:129], v[166:167], v[128:129]            // 0000000117EC: D3B14080 180301A6
	v_pk_mul_f32 v[130:131], v[166:167], v[130:131]            // 0000000117F4: D3B14082 180305A6
	s_waitcnt lgkmcnt(9)                                       // 0000000117FC: BF8CC97F
	v_max3_f32 v176, v180, v181, v176                          // 000000011800: D1D300B0 06C36BB4
	v_max_f32_e32 v176, v182, v176                             // 000000011808: 176161B6
	s_waitcnt lgkmcnt(6)                                       // 00000001180C: BF8CC67F
	v_max3_f32 v177, v183, v184, v177                          // 000000011810: D1D300B1 06C771B7
	v_max_f32_e32 v177, v185, v177                             // 000000011818: 176363B9
	s_waitcnt lgkmcnt(3)                                       // 00000001181C: BF8CC37F
	v_max3_f32 v178, v186, v187, v178                          // 000000011820: D1D300B2 06CB77BA
	v_max_f32_e32 v178, v188, v178                             // 000000011828: 176565BC
	s_waitcnt lgkmcnt(0)                                       // 00000001182C: BF8CC07F
	v_max3_f32 v179, v189, v190, v179                          // 000000011830: D1D300B3 06CF7DBD
	v_max_f32_e32 v179, v191, v179                             // 000000011838: 176767BF
	ds_write_b128 v247, v[176:179]                             // 00000001183C: D9BE0000 0000B0F7
	s_waitcnt lgkmcnt(0)                                       // 000000011844: BF8CC07F
	s_barrier                                                  // 000000011848: BF8A0000
	ds_read_b128 v[180:183], v248                              // 00000001184C: D9FE0000 B40000F8
	ds_read_b128 v[184:187], v248 offset:256                   // 000000011854: D9FE0100 B80000F8
	ds_read_b128 v[188:191], v248 offset:512                   // 00000001185C: D9FE0200 BC0000F8
	ds_read_b128 v[192:195], v248 offset:768                   // 000000011864: D9FE0300 C00000F8
	v_pk_mul_f32 v[68:69], v[144:145], v[68:69]                // 00000001186C: D3B14044 18028990
	v_pk_mul_f32 v[70:71], v[144:145], v[70:71]                // 000000011874: D3B14046 18028D90
	v_pk_mul_f32 v[72:73], v[144:145], v[72:73]                // 00000001187C: D3B14048 18029190
	v_pk_mul_f32 v[74:75], v[144:145], v[74:75]                // 000000011884: D3B1404A 18029590
	v_pk_mul_f32 v[76:77], v[146:147], v[76:77]                // 00000001188C: D3B1404C 18029992
	v_pk_mul_f32 v[78:79], v[146:147], v[78:79]                // 000000011894: D3B1404E 18029D92
	v_pk_mul_f32 v[80:81], v[146:147], v[80:81]                // 00000001189C: D3B14050 1802A192
	v_pk_mul_f32 v[82:83], v[146:147], v[82:83]                // 0000000118A4: D3B14052 1802A592
	v_pk_mul_f32 v[84:85], v[148:149], v[84:85]                // 0000000118AC: D3B14054 1802A994
	v_pk_mul_f32 v[86:87], v[148:149], v[86:87]                // 0000000118B4: D3B14056 1802AD94
	v_pk_mul_f32 v[88:89], v[148:149], v[88:89]                // 0000000118BC: D3B14058 1802B194
	v_pk_mul_f32 v[90:91], v[148:149], v[90:91]                // 0000000118C4: D3B1405A 1802B594
	v_pk_mul_f32 v[92:93], v[150:151], v[92:93]                // 0000000118CC: D3B1405C 1802B996
	v_pk_mul_f32 v[94:95], v[150:151], v[94:95]                // 0000000118D4: D3B1405E 1802BD96
	v_pk_mul_f32 v[96:97], v[150:151], v[96:97]                // 0000000118DC: D3B14060 1802C196
	v_pk_mul_f32 v[98:99], v[150:151], v[98:99]                // 0000000118E4: D3B14062 1802C596
	s_waitcnt lgkmcnt(0)                                       // 0000000118EC: BF8CC07F
	v_max3_f32 v176, v180, v184, v176                          // 0000000118F0: D1D300B0 06C371B4
	v_max3_f32 v177, v181, v185, v177                          // 0000000118F8: D1D300B1 06C773B5
	v_max3_f32 v178, v182, v186, v178                          // 000000011900: D1D300B2 06CB75B6
	v_max3_f32 v179, v183, v187, v179                          // 000000011908: D1D300B3 06CF77B7
	v_max3_f32 v176, v188, v192, v176                          // 000000011910: D1D300B0 06C381BC
	v_max3_f32 v177, v189, v193, v177                          // 000000011918: D1D300B1 06C783BD
	v_max3_f32 v178, v190, v194, v178                          // 000000011920: D1D300B2 06CB85BE
	v_max3_f32 v179, v191, v195, v179                          // 000000011928: D1D300B3 06CF87BF
	v_max_f32_e32 v156, v176, v152                             // 000000011930: 173931B0
	v_mul_f32_e64 v196, -s46, v156                             // 000000011934: D10500C4 2003382E
	v_mov_b32_e32 v197, v196                                   // 00000001193C: 7F8A03C4
	v_pk_fma_f32 v[4:5], v[4:5], s[46:47], v[196:197]          // 000000011940: D3B04004 1F105D04
	v_pk_fma_f32 v[6:7], v[6:7], s[46:47], v[196:197]          // 000000011948: D3B04006 1F105D06
	v_exp_f32_e32 v4, v4                                       // 000000011950: 7E084104
	v_exp_f32_e32 v5, v5                                       // 000000011954: 7E0A4105
	v_exp_f32_e32 v6, v6                                       // 000000011958: 7E0C4106
	v_exp_f32_e32 v7, v7                                       // 00000001195C: 7E0E4107
	v_pk_fma_f32 v[8:9], v[8:9], s[46:47], v[196:197]          // 000000011960: D3B04008 1F105D08
	v_pk_fma_f32 v[10:11], v[10:11], s[46:47], v[196:197]      // 000000011968: D3B0400A 1F105D0A
	v_exp_f32_e32 v8, v8                                       // 000000011970: 7E104108
	v_exp_f32_e32 v9, v9                                       // 000000011974: 7E124109
	v_exp_f32_e32 v10, v10                                     // 000000011978: 7E14410A
	v_exp_f32_e32 v11, v11                                     // 00000001197C: 7E16410B
	v_pk_fma_f32 v[12:13], v[12:13], s[46:47], v[196:197]      // 000000011980: D3B0400C 1F105D0C
	v_pk_fma_f32 v[14:15], v[14:15], s[46:47], v[196:197]      // 000000011988: D3B0400E 1F105D0E
	v_exp_f32_e32 v12, v12                                     // 000000011990: 7E18410C
	v_exp_f32_e32 v13, v13                                     // 000000011994: 7E1A410D
	v_exp_f32_e32 v14, v14                                     // 000000011998: 7E1C410E
	v_exp_f32_e32 v15, v15                                     // 00000001199C: 7E1E410F
	v_pk_fma_f32 v[16:17], v[16:17], s[46:47], v[196:197]      // 0000000119A0: D3B04010 1F105D10
	v_pk_fma_f32 v[18:19], v[18:19], s[46:47], v[196:197]      // 0000000119A8: D3B04012 1F105D12
	v_exp_f32_e32 v16, v16                                     // 0000000119B0: 7E204110
	v_exp_f32_e32 v17, v17                                     // 0000000119B4: 7E224111
	v_exp_f32_e32 v18, v18                                     // 0000000119B8: 7E244112
	v_exp_f32_e32 v19, v19                                     // 0000000119BC: 7E264113
	v_max_f32_e32 v157, v177, v153                             // 0000000119C0: 173B33B1
	v_mul_f32_e64 v196, -s46, v157                             // 0000000119C4: D10500C4 20033A2E
	v_mov_b32_e32 v197, v196                                   // 0000000119CC: 7F8A03C4
	v_pk_fma_f32 v[20:21], v[20:21], s[46:47], v[196:197]      // 0000000119D0: D3B04014 1F105D14
	v_pk_fma_f32 v[22:23], v[22:23], s[46:47], v[196:197]      // 0000000119D8: D3B04016 1F105D16
	v_exp_f32_e32 v20, v20                                     // 0000000119E0: 7E284114
	v_exp_f32_e32 v21, v21                                     // 0000000119E4: 7E2A4115
	v_exp_f32_e32 v22, v22                                     // 0000000119E8: 7E2C4116
	v_exp_f32_e32 v23, v23                                     // 0000000119EC: 7E2E4117
	v_pk_fma_f32 v[24:25], v[24:25], s[46:47], v[196:197]      // 0000000119F0: D3B04018 1F105D18
	v_pk_fma_f32 v[26:27], v[26:27], s[46:47], v[196:197]      // 0000000119F8: D3B0401A 1F105D1A
	v_exp_f32_e32 v24, v24                                     // 000000011A00: 7E304118
	v_exp_f32_e32 v25, v25                                     // 000000011A04: 7E324119
	v_exp_f32_e32 v26, v26                                     // 000000011A08: 7E34411A
	v_exp_f32_e32 v27, v27                                     // 000000011A0C: 7E36411B
	v_pk_fma_f32 v[28:29], v[28:29], s[46:47], v[196:197]      // 000000011A10: D3B0401C 1F105D1C
	v_pk_fma_f32 v[30:31], v[30:31], s[46:47], v[196:197]      // 000000011A18: D3B0401E 1F105D1E
	v_exp_f32_e32 v28, v28                                     // 000000011A20: 7E38411C
	v_exp_f32_e32 v29, v29                                     // 000000011A24: 7E3A411D
	v_exp_f32_e32 v30, v30                                     // 000000011A28: 7E3C411E
	v_exp_f32_e32 v31, v31                                     // 000000011A2C: 7E3E411F
	v_pk_fma_f32 v[32:33], v[32:33], s[46:47], v[196:197]      // 000000011A30: D3B04020 1F105D20
	v_pk_fma_f32 v[34:35], v[34:35], s[46:47], v[196:197]      // 000000011A38: D3B04022 1F105D22
	v_exp_f32_e32 v32, v32                                     // 000000011A40: 7E404120
	v_exp_f32_e32 v33, v33                                     // 000000011A44: 7E424121
	v_exp_f32_e32 v34, v34                                     // 000000011A48: 7E444122
	v_exp_f32_e32 v35, v35                                     // 000000011A4C: 7E464123
	v_max_f32_e32 v158, v178, v154                             // 000000011A50: 173D35B2
	v_mul_f32_e64 v196, -s46, v158                             // 000000011A54: D10500C4 20033C2E
	v_mov_b32_e32 v197, v196                                   // 000000011A5C: 7F8A03C4
	v_pk_fma_f32 v[36:37], v[36:37], s[46:47], v[196:197]      // 000000011A60: D3B04024 1F105D24
	v_pk_fma_f32 v[38:39], v[38:39], s[46:47], v[196:197]      // 000000011A68: D3B04026 1F105D26
	v_exp_f32_e32 v36, v36                                     // 000000011A70: 7E484124
	v_exp_f32_e32 v37, v37                                     // 000000011A74: 7E4A4125
	v_exp_f32_e32 v38, v38                                     // 000000011A78: 7E4C4126
	v_exp_f32_e32 v39, v39                                     // 000000011A7C: 7E4E4127
	v_pk_fma_f32 v[40:41], v[40:41], s[46:47], v[196:197]      // 000000011A80: D3B04028 1F105D28
	v_pk_fma_f32 v[42:43], v[42:43], s[46:47], v[196:197]      // 000000011A88: D3B0402A 1F105D2A
	v_exp_f32_e32 v40, v40                                     // 000000011A90: 7E504128
	v_exp_f32_e32 v41, v41                                     // 000000011A94: 7E524129
	v_exp_f32_e32 v42, v42                                     // 000000011A98: 7E54412A
	v_exp_f32_e32 v43, v43                                     // 000000011A9C: 7E56412B
	v_pk_fma_f32 v[44:45], v[44:45], s[46:47], v[196:197]      // 000000011AA0: D3B0402C 1F105D2C
	v_pk_fma_f32 v[46:47], v[46:47], s[46:47], v[196:197]      // 000000011AA8: D3B0402E 1F105D2E
	v_exp_f32_e32 v44, v44                                     // 000000011AB0: 7E58412C
	v_exp_f32_e32 v45, v45                                     // 000000011AB4: 7E5A412D
	v_exp_f32_e32 v46, v46                                     // 000000011AB8: 7E5C412E
	v_exp_f32_e32 v47, v47                                     // 000000011ABC: 7E5E412F
	v_pk_fma_f32 v[48:49], v[48:49], s[46:47], v[196:197]      // 000000011AC0: D3B04030 1F105D30
	v_pk_fma_f32 v[50:51], v[50:51], s[46:47], v[196:197]      // 000000011AC8: D3B04032 1F105D32
	v_exp_f32_e32 v48, v48                                     // 000000011AD0: 7E604130
	v_exp_f32_e32 v49, v49                                     // 000000011AD4: 7E624131
	v_exp_f32_e32 v50, v50                                     // 000000011AD8: 7E644132
	v_exp_f32_e32 v51, v51                                     // 000000011ADC: 7E664133
	v_max_f32_e32 v159, v179, v155                             // 000000011AE0: 173F37B3
	v_mul_f32_e64 v196, -s46, v159                             // 000000011AE4: D10500C4 20033E2E
	v_mov_b32_e32 v197, v196                                   // 000000011AEC: 7F8A03C4
	v_pk_fma_f32 v[52:53], v[52:53], s[46:47], v[196:197]      // 000000011AF0: D3B04034 1F105D34
	v_pk_fma_f32 v[54:55], v[54:55], s[46:47], v[196:197]      // 000000011AF8: D3B04036 1F105D36
	v_exp_f32_e32 v52, v52                                     // 000000011B00: 7E684134
	v_exp_f32_e32 v53, v53                                     // 000000011B04: 7E6A4135
	v_exp_f32_e32 v54, v54                                     // 000000011B08: 7E6C4136
	v_exp_f32_e32 v55, v55                                     // 000000011B0C: 7E6E4137
	v_pk_fma_f32 v[56:57], v[56:57], s[46:47], v[196:197]      // 000000011B10: D3B04038 1F105D38
	v_pk_fma_f32 v[58:59], v[58:59], s[46:47], v[196:197]      // 000000011B18: D3B0403A 1F105D3A
	v_exp_f32_e32 v56, v56                                     // 000000011B20: 7E704138
	v_exp_f32_e32 v57, v57                                     // 000000011B24: 7E724139
	v_exp_f32_e32 v58, v58                                     // 000000011B28: 7E74413A
	v_exp_f32_e32 v59, v59                                     // 000000011B2C: 7E76413B
	v_pk_fma_f32 v[60:61], v[60:61], s[46:47], v[196:197]      // 000000011B30: D3B0403C 1F105D3C
	v_pk_fma_f32 v[62:63], v[62:63], s[46:47], v[196:197]      // 000000011B38: D3B0403E 1F105D3E
	v_exp_f32_e32 v60, v60                                     // 000000011B40: 7E78413C
	v_exp_f32_e32 v61, v61                                     // 000000011B44: 7E7A413D
	v_exp_f32_e32 v62, v62                                     // 000000011B48: 7E7C413E
	v_exp_f32_e32 v63, v63                                     // 000000011B4C: 7E7E413F
	v_pk_fma_f32 v[64:65], v[64:65], s[46:47], v[196:197]      // 000000011B50: D3B04040 1F105D40
	v_pk_fma_f32 v[66:67], v[66:67], s[46:47], v[196:197]      // 000000011B58: D3B04042 1F105D42
	v_exp_f32_e32 v64, v64                                     // 000000011B60: 7E804140
	v_exp_f32_e32 v65, v65                                     // 000000011B64: 7E824141
	v_exp_f32_e32 v66, v66                                     // 000000011B68: 7E844142
	v_exp_f32_e32 v67, v67                                     // 000000011B6C: 7E864143
	v_sub_f32_e32 v160, v152, v156                             // 000000011B70: 05413998
	v_cmp_eq_u32_e64 s[98:99], v216, v152                      // 000000011B74: D0CA0062 000331D8
	v_cndmask_b32_e64 v160, v160, 0, s[98:99]                  // 000000011B7C: D10000A0 018901A0
	v_mov_b32_e32 v152, v156                                   // 000000011B84: 7F30039C
	v_mul_f32_e32 v160, s46, v160                              // 000000011B88: 0B41402E
	v_exp_f32_e32 v160, v160                                   // 000000011B8C: 7F4041A0
	v_sub_f32_e32 v162, v153, v157                             // 000000011B90: 05453B99
	v_cmp_eq_u32_e64 s[98:99], v216, v153                      // 000000011B94: D0CA0062 000333D8
	v_cndmask_b32_e64 v162, v162, 0, s[98:99]                  // 000000011B9C: D10000A2 018901A2
	v_mov_b32_e32 v153, v157                                   // 000000011BA4: 7F32039D
	v_mul_f32_e32 v162, s46, v162                              // 000000011BA8: 0B45442E
	v_exp_f32_e32 v162, v162                                   // 000000011BAC: 7F4441A2
	v_sub_f32_e32 v164, v154, v158                             // 000000011BB0: 05493D9A
	v_cmp_eq_u32_e64 s[98:99], v216, v154                      // 000000011BB4: D0CA0062 000335D8
	v_cndmask_b32_e64 v164, v164, 0, s[98:99]                  // 000000011BBC: D10000A4 018901A4
	v_mov_b32_e32 v154, v158                                   // 000000011BC4: 7F34039E
	v_mul_f32_e32 v164, s46, v164                              // 000000011BC8: 0B49482E
	v_exp_f32_e32 v164, v164                                   // 000000011BCC: 7F4841A4
	v_sub_f32_e32 v166, v155, v159                             // 000000011BD0: 054D3F9B
	v_cmp_eq_u32_e64 s[98:99], v216, v155                      // 000000011BD4: D0CA0062 000337D8
	v_cndmask_b32_e64 v166, v166, 0, s[98:99]                  // 000000011BDC: D10000A6 018901A6
	v_mov_b32_e32 v155, v159                                   // 000000011BE4: 7F36039F
	v_mul_f32_e32 v166, s46, v166                              // 000000011BE8: 0B4D4C2E
	v_exp_f32_e32 v166, v166                                   // 000000011BEC: 7F4C41A6
	v_mov_b32_e32 v161, v160                                   // 000000011BF0: 7F4203A0
	v_mov_b32_e32 v163, v162                                   // 000000011BF4: 7F4603A2
	v_mov_b32_e32 v165, v164                                   // 000000011BF8: 7F4A03A4
	v_mov_b32_e32 v167, v166                                   // 000000011BFC: 7F4E03A6
	v_mul_f32_e32 v168, v160, v168                             // 000000011C00: 0B5151A0
	v_mov_b32_e32 v169, 0                                      // 000000011C04: 7F520280
	v_pk_add_f32 v[168:169], v[4:5], v[168:169]                // 000000011C08: D3B240A8 18035104
	v_pk_add_f32 v[168:169], v[6:7], v[168:169]                // 000000011C10: D3B240A8 18035106
	v_pk_add_f32 v[168:169], v[8:9], v[168:169]                // 000000011C18: D3B240A8 18035108
	v_pk_add_f32 v[168:169], v[10:11], v[168:169]              // 000000011C20: D3B240A8 1803510A
	v_pk_add_f32 v[168:169], v[12:13], v[168:169]              // 000000011C28: D3B240A8 1803510C
	v_pk_add_f32 v[168:169], v[14:15], v[168:169]              // 000000011C30: D3B240A8 1803510E
	v_pk_add_f32 v[168:169], v[16:17], v[168:169]              // 000000011C38: D3B240A8 18035110
	v_pk_add_f32 v[168:169], v[18:19], v[168:169]              // 000000011C40: D3B240A8 18035112
	v_add_f32_e32 v168, v169, v168                             // 000000011C48: 035151A9
	v_mul_f32_e32 v170, v162, v170                             // 000000011C4C: 0B5555A2
	v_mov_b32_e32 v171, 0                                      // 000000011C50: 7F560280
	v_pk_add_f32 v[170:171], v[20:21], v[170:171]              // 000000011C54: D3B240AA 18035514
	v_pk_add_f32 v[170:171], v[22:23], v[170:171]              // 000000011C5C: D3B240AA 18035516
	v_pk_add_f32 v[170:171], v[24:25], v[170:171]              // 000000011C64: D3B240AA 18035518
	v_pk_add_f32 v[170:171], v[26:27], v[170:171]              // 000000011C6C: D3B240AA 1803551A
	v_pk_add_f32 v[170:171], v[28:29], v[170:171]              // 000000011C74: D3B240AA 1803551C
	v_pk_add_f32 v[170:171], v[30:31], v[170:171]              // 000000011C7C: D3B240AA 1803551E
	v_pk_add_f32 v[170:171], v[32:33], v[170:171]              // 000000011C84: D3B240AA 18035520
	v_pk_add_f32 v[170:171], v[34:35], v[170:171]              // 000000011C8C: D3B240AA 18035522
	v_add_f32_e32 v170, v171, v170                             // 000000011C94: 035555AB
	v_mul_f32_e32 v172, v164, v172                             // 000000011C98: 0B5959A4
	v_mov_b32_e32 v173, 0                                      // 000000011C9C: 7F5A0280
	v_pk_add_f32 v[172:173], v[36:37], v[172:173]              // 000000011CA0: D3B240AC 18035924
	v_pk_add_f32 v[172:173], v[38:39], v[172:173]              // 000000011CA8: D3B240AC 18035926
	v_pk_add_f32 v[172:173], v[40:41], v[172:173]              // 000000011CB0: D3B240AC 18035928
	v_pk_add_f32 v[172:173], v[42:43], v[172:173]              // 000000011CB8: D3B240AC 1803592A
	v_pk_add_f32 v[172:173], v[44:45], v[172:173]              // 000000011CC0: D3B240AC 1803592C
	v_pk_add_f32 v[172:173], v[46:47], v[172:173]              // 000000011CC8: D3B240AC 1803592E
	v_pk_add_f32 v[172:173], v[48:49], v[172:173]              // 000000011CD0: D3B240AC 18035930
	v_pk_add_f32 v[172:173], v[50:51], v[172:173]              // 000000011CD8: D3B240AC 18035932
	v_add_f32_e32 v172, v173, v172                             // 000000011CE0: 035959AD
	v_mul_f32_e32 v174, v166, v174                             // 000000011CE4: 0B5D5DA6
	v_mov_b32_e32 v175, 0                                      // 000000011CE8: 7F5E0280
	v_pk_add_f32 v[174:175], v[52:53], v[174:175]              // 000000011CEC: D3B240AE 18035D34
	v_pk_add_f32 v[174:175], v[54:55], v[174:175]              // 000000011CF4: D3B240AE 18035D36
	v_pk_add_f32 v[174:175], v[56:57], v[174:175]              // 000000011CFC: D3B240AE 18035D38
	v_pk_add_f32 v[174:175], v[58:59], v[174:175]              // 000000011D04: D3B240AE 18035D3A
	v_pk_add_f32 v[174:175], v[60:61], v[174:175]              // 000000011D0C: D3B240AE 18035D3C
	v_pk_add_f32 v[174:175], v[62:63], v[174:175]              // 000000011D14: D3B240AE 18035D3E
	v_pk_add_f32 v[174:175], v[64:65], v[174:175]              // 000000011D1C: D3B240AE 18035D40
	v_pk_add_f32 v[174:175], v[66:67], v[174:175]              // 000000011D24: D3B240AE 18035D42
	v_add_f32_e32 v174, v175, v174                             // 000000011D2C: 035D5DAF
	v_mul_f32_dpp v4, v143, v4 row_newbcast:0 row_mask:0xf bank_mask:0xf// 000000011D30: 0A0808FA FF01508F
	v_mul_f32_dpp v5, v143, v5 row_newbcast:1 row_mask:0xf bank_mask:0xf// 000000011D38: 0A0A0AFA FF01518F
	v_mul_f32_dpp v6, v143, v6 row_newbcast:2 row_mask:0xf bank_mask:0xf// 000000011D40: 0A0C0CFA FF01528F
	v_mul_f32_dpp v7, v143, v7 row_newbcast:3 row_mask:0xf bank_mask:0xf// 000000011D48: 0A0E0EFA FF01538F
	v_mul_f32_dpp v8, v143, v8 row_newbcast:4 row_mask:0xf bank_mask:0xf// 000000011D50: 0A1010FA FF01548F
	v_mul_f32_dpp v9, v143, v9 row_newbcast:5 row_mask:0xf bank_mask:0xf// 000000011D58: 0A1212FA FF01558F
	v_mul_f32_dpp v10, v143, v10 row_newbcast:6 row_mask:0xf bank_mask:0xf// 000000011D60: 0A1414FA FF01568F
	v_mul_f32_dpp v11, v143, v11 row_newbcast:7 row_mask:0xf bank_mask:0xf// 000000011D68: 0A1616FA FF01578F
	v_mul_f32_dpp v12, v143, v12 row_newbcast:8 row_mask:0xf bank_mask:0xf// 000000011D70: 0A1818FA FF01588F
	v_mul_f32_dpp v13, v143, v13 row_newbcast:9 row_mask:0xf bank_mask:0xf// 000000011D78: 0A1A1AFA FF01598F
	v_mul_f32_dpp v14, v143, v14 row_newbcast:10 row_mask:0xf bank_mask:0xf// 000000011D80: 0A1C1CFA FF015A8F
	v_mul_f32_dpp v15, v143, v15 row_newbcast:11 row_mask:0xf bank_mask:0xf// 000000011D88: 0A1E1EFA FF015B8F
	v_mul_f32_dpp v16, v143, v16 row_newbcast:12 row_mask:0xf bank_mask:0xf// 000000011D90: 0A2020FA FF015C8F
	v_mul_f32_dpp v17, v143, v17 row_newbcast:13 row_mask:0xf bank_mask:0xf// 000000011D98: 0A2222FA FF015D8F
	v_mul_f32_dpp v18, v143, v18 row_newbcast:14 row_mask:0xf bank_mask:0xf// 000000011DA0: 0A2424FA FF015E8F
	v_mul_f32_dpp v19, v143, v19 row_newbcast:15 row_mask:0xf bank_mask:0xf// 000000011DA8: 0A2626FA FF015F8F
	v_mul_f32_dpp v20, v143, v20 row_newbcast:0 row_mask:0xf bank_mask:0xf// 000000011DB0: 0A2828FA FF01508F
	v_mul_f32_dpp v21, v143, v21 row_newbcast:1 row_mask:0xf bank_mask:0xf// 000000011DB8: 0A2A2AFA FF01518F
	v_mul_f32_dpp v22, v143, v22 row_newbcast:2 row_mask:0xf bank_mask:0xf// 000000011DC0: 0A2C2CFA FF01528F
	v_mul_f32_dpp v23, v143, v23 row_newbcast:3 row_mask:0xf bank_mask:0xf// 000000011DC8: 0A2E2EFA FF01538F
	v_mul_f32_dpp v24, v143, v24 row_newbcast:4 row_mask:0xf bank_mask:0xf// 000000011DD0: 0A3030FA FF01548F
	v_mul_f32_dpp v25, v143, v25 row_newbcast:5 row_mask:0xf bank_mask:0xf// 000000011DD8: 0A3232FA FF01558F
	v_mul_f32_dpp v26, v143, v26 row_newbcast:6 row_mask:0xf bank_mask:0xf// 000000011DE0: 0A3434FA FF01568F
	v_mul_f32_dpp v27, v143, v27 row_newbcast:7 row_mask:0xf bank_mask:0xf// 000000011DE8: 0A3636FA FF01578F
	v_mul_f32_dpp v28, v143, v28 row_newbcast:8 row_mask:0xf bank_mask:0xf// 000000011DF0: 0A3838FA FF01588F
	v_mul_f32_dpp v29, v143, v29 row_newbcast:9 row_mask:0xf bank_mask:0xf// 000000011DF8: 0A3A3AFA FF01598F
	v_mul_f32_dpp v30, v143, v30 row_newbcast:10 row_mask:0xf bank_mask:0xf// 000000011E00: 0A3C3CFA FF015A8F
	v_mul_f32_dpp v31, v143, v31 row_newbcast:11 row_mask:0xf bank_mask:0xf// 000000011E08: 0A3E3EFA FF015B8F
	v_mul_f32_dpp v32, v143, v32 row_newbcast:12 row_mask:0xf bank_mask:0xf// 000000011E10: 0A4040FA FF015C8F
	v_mul_f32_dpp v33, v143, v33 row_newbcast:13 row_mask:0xf bank_mask:0xf// 000000011E18: 0A4242FA FF015D8F
	v_mul_f32_dpp v34, v143, v34 row_newbcast:14 row_mask:0xf bank_mask:0xf// 000000011E20: 0A4444FA FF015E8F
	v_mul_f32_dpp v35, v143, v35 row_newbcast:15 row_mask:0xf bank_mask:0xf// 000000011E28: 0A4646FA FF015F8F
	v_mul_f32_dpp v36, v143, v36 row_newbcast:0 row_mask:0xf bank_mask:0xf// 000000011E30: 0A4848FA FF01508F
	v_mul_f32_dpp v37, v143, v37 row_newbcast:1 row_mask:0xf bank_mask:0xf// 000000011E38: 0A4A4AFA FF01518F
	v_mul_f32_dpp v38, v143, v38 row_newbcast:2 row_mask:0xf bank_mask:0xf// 000000011E40: 0A4C4CFA FF01528F
	v_mul_f32_dpp v39, v143, v39 row_newbcast:3 row_mask:0xf bank_mask:0xf// 000000011E48: 0A4E4EFA FF01538F
	v_mul_f32_dpp v40, v143, v40 row_newbcast:4 row_mask:0xf bank_mask:0xf// 000000011E50: 0A5050FA FF01548F
	v_mul_f32_dpp v41, v143, v41 row_newbcast:5 row_mask:0xf bank_mask:0xf// 000000011E58: 0A5252FA FF01558F
	v_mul_f32_dpp v42, v143, v42 row_newbcast:6 row_mask:0xf bank_mask:0xf// 000000011E60: 0A5454FA FF01568F
	v_mul_f32_dpp v43, v143, v43 row_newbcast:7 row_mask:0xf bank_mask:0xf// 000000011E68: 0A5656FA FF01578F
	v_mul_f32_dpp v44, v143, v44 row_newbcast:8 row_mask:0xf bank_mask:0xf// 000000011E70: 0A5858FA FF01588F
	v_mul_f32_dpp v45, v143, v45 row_newbcast:9 row_mask:0xf bank_mask:0xf// 000000011E78: 0A5A5AFA FF01598F
	v_mul_f32_dpp v46, v143, v46 row_newbcast:10 row_mask:0xf bank_mask:0xf// 000000011E80: 0A5C5CFA FF015A8F
	v_mul_f32_dpp v47, v143, v47 row_newbcast:11 row_mask:0xf bank_mask:0xf// 000000011E88: 0A5E5EFA FF015B8F
	v_mul_f32_dpp v48, v143, v48 row_newbcast:12 row_mask:0xf bank_mask:0xf// 000000011E90: 0A6060FA FF015C8F
	v_mul_f32_dpp v49, v143, v49 row_newbcast:13 row_mask:0xf bank_mask:0xf// 000000011E98: 0A6262FA FF015D8F
	v_mul_f32_dpp v50, v143, v50 row_newbcast:14 row_mask:0xf bank_mask:0xf// 000000011EA0: 0A6464FA FF015E8F
	v_mul_f32_dpp v51, v143, v51 row_newbcast:15 row_mask:0xf bank_mask:0xf// 000000011EA8: 0A6666FA FF015F8F
	v_mul_f32_dpp v52, v143, v52 row_newbcast:0 row_mask:0xf bank_mask:0xf// 000000011EB0: 0A6868FA FF01508F
	v_mul_f32_dpp v53, v143, v53 row_newbcast:1 row_mask:0xf bank_mask:0xf// 000000011EB8: 0A6A6AFA FF01518F
	v_mul_f32_dpp v54, v143, v54 row_newbcast:2 row_mask:0xf bank_mask:0xf// 000000011EC0: 0A6C6CFA FF01528F
	v_mul_f32_dpp v55, v143, v55 row_newbcast:3 row_mask:0xf bank_mask:0xf// 000000011EC8: 0A6E6EFA FF01538F
	v_mul_f32_dpp v56, v143, v56 row_newbcast:4 row_mask:0xf bank_mask:0xf// 000000011ED0: 0A7070FA FF01548F
	v_mul_f32_dpp v57, v143, v57 row_newbcast:5 row_mask:0xf bank_mask:0xf// 000000011ED8: 0A7272FA FF01558F
	v_mul_f32_dpp v58, v143, v58 row_newbcast:6 row_mask:0xf bank_mask:0xf// 000000011EE0: 0A7474FA FF01568F
	v_mul_f32_dpp v59, v143, v59 row_newbcast:7 row_mask:0xf bank_mask:0xf// 000000011EE8: 0A7676FA FF01578F
	v_mul_f32_dpp v60, v143, v60 row_newbcast:8 row_mask:0xf bank_mask:0xf// 000000011EF0: 0A7878FA FF01588F
	v_mul_f32_dpp v61, v143, v61 row_newbcast:9 row_mask:0xf bank_mask:0xf// 000000011EF8: 0A7A7AFA FF01598F
	v_mul_f32_dpp v62, v143, v62 row_newbcast:10 row_mask:0xf bank_mask:0xf// 000000011F00: 0A7C7CFA FF015A8F
	v_mul_f32_dpp v63, v143, v63 row_newbcast:11 row_mask:0xf bank_mask:0xf// 000000011F08: 0A7E7EFA FF015B8F
	v_mul_f32_dpp v64, v143, v64 row_newbcast:12 row_mask:0xf bank_mask:0xf// 000000011F10: 0A8080FA FF015C8F
	v_mul_f32_dpp v65, v143, v65 row_newbcast:13 row_mask:0xf bank_mask:0xf// 000000011F18: 0A8282FA FF015D8F
	v_mul_f32_dpp v66, v143, v66 row_newbcast:14 row_mask:0xf bank_mask:0xf// 000000011F20: 0A8484FA FF015E8F
	v_mul_f32_dpp v67, v143, v67 row_newbcast:15 row_mask:0xf bank_mask:0xf// 000000011F28: 0A8686FA FF015F8F
	v_add_u32_e32 v196, s64, v215                              // 000000011F30: 6989AE40
	v_add_u32_e32 v197, 0, v196                                // 000000011F34: 698B8880
	v_cmp_lt_u32_e32 vcc, v197, v211                           // 000000011F38: 7D93A7C5
	v_cndmask_b32_e32 v4, 0, v4, vcc                           // 000000011F3C: 00080880
	v_cmp_lt_u32_e32 vcc, v197, v212                           // 000000011F40: 7D93A9C5
	v_cndmask_b32_e32 v20, 0, v20, vcc                         // 000000011F44: 00282880
	v_cmp_lt_u32_e32 vcc, v197, v213                           // 000000011F48: 7D93ABC5
	v_cndmask_b32_e32 v36, 0, v36, vcc                         // 000000011F4C: 00484880
	v_cmp_lt_u32_e32 vcc, v197, v214                           // 000000011F50: 7D93ADC5
	v_cndmask_b32_e32 v52, 0, v52, vcc                         // 000000011F54: 00686880
	v_add_u32_e32 v197, 1, v196                                // 000000011F58: 698B8881
	v_cmp_lt_u32_e32 vcc, v197, v211                           // 000000011F5C: 7D93A7C5
	v_cndmask_b32_e32 v5, 0, v5, vcc                           // 000000011F60: 000A0A80
	v_cmp_lt_u32_e32 vcc, v197, v212                           // 000000011F64: 7D93A9C5
	v_cndmask_b32_e32 v21, 0, v21, vcc                         // 000000011F68: 002A2A80
	v_cmp_lt_u32_e32 vcc, v197, v213                           // 000000011F6C: 7D93ABC5
	v_cndmask_b32_e32 v37, 0, v37, vcc                         // 000000011F70: 004A4A80
	v_cmp_lt_u32_e32 vcc, v197, v214                           // 000000011F74: 7D93ADC5
	v_cndmask_b32_e32 v53, 0, v53, vcc                         // 000000011F78: 006A6A80
	v_add_u32_e32 v197, 2, v196                                // 000000011F7C: 698B8882
	v_cmp_lt_u32_e32 vcc, v197, v211                           // 000000011F80: 7D93A7C5
	v_cndmask_b32_e32 v6, 0, v6, vcc                           // 000000011F84: 000C0C80
	v_cmp_lt_u32_e32 vcc, v197, v212                           // 000000011F88: 7D93A9C5
	v_cndmask_b32_e32 v22, 0, v22, vcc                         // 000000011F8C: 002C2C80
	v_cmp_lt_u32_e32 vcc, v197, v213                           // 000000011F90: 7D93ABC5
	v_cndmask_b32_e32 v38, 0, v38, vcc                         // 000000011F94: 004C4C80
	v_cmp_lt_u32_e32 vcc, v197, v214                           // 000000011F98: 7D93ADC5
	v_cndmask_b32_e32 v54, 0, v54, vcc                         // 000000011F9C: 006C6C80
	v_add_u32_e32 v197, 3, v196                                // 000000011FA0: 698B8883
	v_cmp_lt_u32_e32 vcc, v197, v211                           // 000000011FA4: 7D93A7C5
	v_cndmask_b32_e32 v7, 0, v7, vcc                           // 000000011FA8: 000E0E80
	v_cmp_lt_u32_e32 vcc, v197, v212                           // 000000011FAC: 7D93A9C5
	v_cndmask_b32_e32 v23, 0, v23, vcc                         // 000000011FB0: 002E2E80
	v_cmp_lt_u32_e32 vcc, v197, v213                           // 000000011FB4: 7D93ABC5
	v_cndmask_b32_e32 v39, 0, v39, vcc                         // 000000011FB8: 004E4E80
	v_cmp_lt_u32_e32 vcc, v197, v214                           // 000000011FBC: 7D93ADC5
	v_cndmask_b32_e32 v55, 0, v55, vcc                         // 000000011FC0: 006E6E80
	v_add_u32_e32 v197, 64, v196                               // 000000011FC4: 698B88C0
	v_cmp_lt_u32_e32 vcc, v197, v211                           // 000000011FC8: 7D93A7C5
	v_cndmask_b32_e32 v8, 0, v8, vcc                           // 000000011FCC: 00101080
	v_cmp_lt_u32_e32 vcc, v197, v212                           // 000000011FD0: 7D93A9C5
	v_cndmask_b32_e32 v24, 0, v24, vcc                         // 000000011FD4: 00303080
	v_cmp_lt_u32_e32 vcc, v197, v213                           // 000000011FD8: 7D93ABC5
	v_cndmask_b32_e32 v40, 0, v40, vcc                         // 000000011FDC: 00505080
	v_cmp_lt_u32_e32 vcc, v197, v214                           // 000000011FE0: 7D93ADC5
	v_cndmask_b32_e32 v56, 0, v56, vcc                         // 000000011FE4: 00707080
	v_add_u32_e32 v197, 0x41, v196                             // 000000011FE8: 698B88FF 00000041
	v_cmp_lt_u32_e32 vcc, v197, v211                           // 000000011FF0: 7D93A7C5
	v_cndmask_b32_e32 v9, 0, v9, vcc                           // 000000011FF4: 00121280
	v_cmp_lt_u32_e32 vcc, v197, v212                           // 000000011FF8: 7D93A9C5
	v_cndmask_b32_e32 v25, 0, v25, vcc                         // 000000011FFC: 00323280
	v_cmp_lt_u32_e32 vcc, v197, v213                           // 000000012000: 7D93ABC5
	v_cndmask_b32_e32 v41, 0, v41, vcc                         // 000000012004: 00525280
	v_cmp_lt_u32_e32 vcc, v197, v214                           // 000000012008: 7D93ADC5
	v_cndmask_b32_e32 v57, 0, v57, vcc                         // 00000001200C: 00727280
	v_add_u32_e32 v197, 0x42, v196                             // 000000012010: 698B88FF 00000042
	v_cmp_lt_u32_e32 vcc, v197, v211                           // 000000012018: 7D93A7C5
	v_cndmask_b32_e32 v10, 0, v10, vcc                         // 00000001201C: 00141480
	v_cmp_lt_u32_e32 vcc, v197, v212                           // 000000012020: 7D93A9C5
	v_cndmask_b32_e32 v26, 0, v26, vcc                         // 000000012024: 00343480
	v_cmp_lt_u32_e32 vcc, v197, v213                           // 000000012028: 7D93ABC5
	v_cndmask_b32_e32 v42, 0, v42, vcc                         // 00000001202C: 00545480
	v_cmp_lt_u32_e32 vcc, v197, v214                           // 000000012030: 7D93ADC5
	v_cndmask_b32_e32 v58, 0, v58, vcc                         // 000000012034: 00747480
	v_add_u32_e32 v197, 0x43, v196                             // 000000012038: 698B88FF 00000043
	v_cmp_lt_u32_e32 vcc, v197, v211                           // 000000012040: 7D93A7C5
	v_cndmask_b32_e32 v11, 0, v11, vcc                         // 000000012044: 00161680
	v_cmp_lt_u32_e32 vcc, v197, v212                           // 000000012048: 7D93A9C5
	v_cndmask_b32_e32 v27, 0, v27, vcc                         // 00000001204C: 00363680
	v_cmp_lt_u32_e32 vcc, v197, v213                           // 000000012050: 7D93ABC5
	v_cndmask_b32_e32 v43, 0, v43, vcc                         // 000000012054: 00565680
	v_cmp_lt_u32_e32 vcc, v197, v214                           // 000000012058: 7D93ADC5
	v_cndmask_b32_e32 v59, 0, v59, vcc                         // 00000001205C: 00767680
	v_add_u32_e32 v197, 0x80, v196                             // 000000012060: 698B88FF 00000080
	v_cmp_lt_u32_e32 vcc, v197, v211                           // 000000012068: 7D93A7C5
	v_cndmask_b32_e32 v12, 0, v12, vcc                         // 00000001206C: 00181880
	v_cmp_lt_u32_e32 vcc, v197, v212                           // 000000012070: 7D93A9C5
	v_cndmask_b32_e32 v28, 0, v28, vcc                         // 000000012074: 00383880
	v_cmp_lt_u32_e32 vcc, v197, v213                           // 000000012078: 7D93ABC5
	v_cndmask_b32_e32 v44, 0, v44, vcc                         // 00000001207C: 00585880
	v_cmp_lt_u32_e32 vcc, v197, v214                           // 000000012080: 7D93ADC5
	v_cndmask_b32_e32 v60, 0, v60, vcc                         // 000000012084: 00787880
	v_add_u32_e32 v197, 0x81, v196                             // 000000012088: 698B88FF 00000081
	v_cmp_lt_u32_e32 vcc, v197, v211                           // 000000012090: 7D93A7C5
	v_cndmask_b32_e32 v13, 0, v13, vcc                         // 000000012094: 001A1A80
	v_cmp_lt_u32_e32 vcc, v197, v212                           // 000000012098: 7D93A9C5
	v_cndmask_b32_e32 v29, 0, v29, vcc                         // 00000001209C: 003A3A80
	v_cmp_lt_u32_e32 vcc, v197, v213                           // 0000000120A0: 7D93ABC5
	v_cndmask_b32_e32 v45, 0, v45, vcc                         // 0000000120A4: 005A5A80
	v_cmp_lt_u32_e32 vcc, v197, v214                           // 0000000120A8: 7D93ADC5
	v_cndmask_b32_e32 v61, 0, v61, vcc                         // 0000000120AC: 007A7A80
	v_add_u32_e32 v197, 0x82, v196                             // 0000000120B0: 698B88FF 00000082
	v_cmp_lt_u32_e32 vcc, v197, v211                           // 0000000120B8: 7D93A7C5
	v_cndmask_b32_e32 v14, 0, v14, vcc                         // 0000000120BC: 001C1C80
	v_cmp_lt_u32_e32 vcc, v197, v212                           // 0000000120C0: 7D93A9C5
	v_cndmask_b32_e32 v30, 0, v30, vcc                         // 0000000120C4: 003C3C80
	v_cmp_lt_u32_e32 vcc, v197, v213                           // 0000000120C8: 7D93ABC5
	v_cndmask_b32_e32 v46, 0, v46, vcc                         // 0000000120CC: 005C5C80
	v_cmp_lt_u32_e32 vcc, v197, v214                           // 0000000120D0: 7D93ADC5
	v_cndmask_b32_e32 v62, 0, v62, vcc                         // 0000000120D4: 007C7C80
	v_add_u32_e32 v197, 0x83, v196                             // 0000000120D8: 698B88FF 00000083
	v_cmp_lt_u32_e32 vcc, v197, v211                           // 0000000120E0: 7D93A7C5
	v_cndmask_b32_e32 v15, 0, v15, vcc                         // 0000000120E4: 001E1E80
	v_cmp_lt_u32_e32 vcc, v197, v212                           // 0000000120E8: 7D93A9C5
	v_cndmask_b32_e32 v31, 0, v31, vcc                         // 0000000120EC: 003E3E80
	v_cmp_lt_u32_e32 vcc, v197, v213                           // 0000000120F0: 7D93ABC5
	v_cndmask_b32_e32 v47, 0, v47, vcc                         // 0000000120F4: 005E5E80
	v_cmp_lt_u32_e32 vcc, v197, v214                           // 0000000120F8: 7D93ADC5
	v_cndmask_b32_e32 v63, 0, v63, vcc                         // 0000000120FC: 007E7E80
	v_add_u32_e32 v197, 0xc0, v196                             // 000000012100: 698B88FF 000000C0
	v_cmp_lt_u32_e32 vcc, v197, v211                           // 000000012108: 7D93A7C5
	v_cndmask_b32_e32 v16, 0, v16, vcc                         // 00000001210C: 00202080
	v_cmp_lt_u32_e32 vcc, v197, v212                           // 000000012110: 7D93A9C5
	v_cndmask_b32_e32 v32, 0, v32, vcc                         // 000000012114: 00404080
	v_cmp_lt_u32_e32 vcc, v197, v213                           // 000000012118: 7D93ABC5
	v_cndmask_b32_e32 v48, 0, v48, vcc                         // 00000001211C: 00606080
	v_cmp_lt_u32_e32 vcc, v197, v214                           // 000000012120: 7D93ADC5
	v_cndmask_b32_e32 v64, 0, v64, vcc                         // 000000012124: 00808080
	v_add_u32_e32 v197, 0xc1, v196                             // 000000012128: 698B88FF 000000C1
	v_cmp_lt_u32_e32 vcc, v197, v211                           // 000000012130: 7D93A7C5
	v_cndmask_b32_e32 v17, 0, v17, vcc                         // 000000012134: 00222280
	v_cmp_lt_u32_e32 vcc, v197, v212                           // 000000012138: 7D93A9C5
	v_cndmask_b32_e32 v33, 0, v33, vcc                         // 00000001213C: 00424280
	v_cmp_lt_u32_e32 vcc, v197, v213                           // 000000012140: 7D93ABC5
	v_cndmask_b32_e32 v49, 0, v49, vcc                         // 000000012144: 00626280
	v_cmp_lt_u32_e32 vcc, v197, v214                           // 000000012148: 7D93ADC5
	v_cndmask_b32_e32 v65, 0, v65, vcc                         // 00000001214C: 00828280
	v_add_u32_e32 v197, 0xc2, v196                             // 000000012150: 698B88FF 000000C2
	v_cmp_lt_u32_e32 vcc, v197, v211                           // 000000012158: 7D93A7C5
	v_cndmask_b32_e32 v18, 0, v18, vcc                         // 00000001215C: 00242480
	v_cmp_lt_u32_e32 vcc, v197, v212                           // 000000012160: 7D93A9C5
	v_cndmask_b32_e32 v34, 0, v34, vcc                         // 000000012164: 00444480
	v_cmp_lt_u32_e32 vcc, v197, v213                           // 000000012168: 7D93ABC5
	v_cndmask_b32_e32 v50, 0, v50, vcc                         // 00000001216C: 00646480
	v_cmp_lt_u32_e32 vcc, v197, v214                           // 000000012170: 7D93ADC5
	v_cndmask_b32_e32 v66, 0, v66, vcc                         // 000000012174: 00848480
	v_add_u32_e32 v197, 0xc3, v196                             // 000000012178: 698B88FF 000000C3
	v_cmp_lt_u32_e32 vcc, v197, v211                           // 000000012180: 7D93A7C5
	v_cndmask_b32_e32 v19, 0, v19, vcc                         // 000000012184: 00262680
	v_cmp_lt_u32_e32 vcc, v197, v212                           // 000000012188: 7D93A9C5
	v_cndmask_b32_e32 v35, 0, v35, vcc                         // 00000001218C: 00464680
	v_cmp_lt_u32_e32 vcc, v197, v213                           // 000000012190: 7D93ABC5
	v_cndmask_b32_e32 v51, 0, v51, vcc                         // 000000012194: 00666680
	v_cmp_lt_u32_e32 vcc, v197, v214                           // 000000012198: 7D93ADC5
	v_cndmask_b32_e32 v67, 0, v67, vcc                         // 00000001219C: 00868680
	buffer_load_dword v140, v231, s[20:23], 0 offen            // 0000000121A0: E0501000 80058CE7
	s_waitcnt lgkmcnt(0)                                       // 0000000121A8: BF8CC07F
	s_barrier                                                  // 0000000121AC: BF8A0000
	buffer_load_dword v142, v232, s[24:27], 0 offen            // 0000000121B0: E0501000 80068EE8
	s_waitcnt lgkmcnt(0)                                       // 0000000121B8: BF8CC07F
	v_sub_f32_e32 v176, v176, v152                             // 0000000121BC: 056131B0
	v_sub_f32_e32 v177, v177, v153                             // 0000000121C0: 056333B1
	v_sub_f32_e32 v178, v178, v154                             // 0000000121C4: 056535B2
	v_sub_f32_e32 v179, v179, v155                             // 0000000121C8: 056737B3
	v_mul_f32_e32 v176, s46, v176                              // 0000000121CC: 0B61602E
	v_mul_f32_e32 v177, s46, v177                              // 0000000121D0: 0B63622E
	v_mul_f32_e32 v178, s46, v178                              // 0000000121D4: 0B65642E
	v_mul_f32_e32 v179, s46, v179                              // 0000000121D8: 0B67662E
	v_exp_f32_e32 v176, v176                                   // 0000000121DC: 7F6041B0
	v_exp_f32_e32 v177, v177                                   // 0000000121E0: 7F6241B1
	v_exp_f32_e32 v178, v178                                   // 0000000121E4: 7F6441B2
	v_exp_f32_e32 v179, v179                                   // 0000000121E8: 7F6641B3
	v_mul_f32_e32 v176, v143, v176                             // 0000000121EC: 0B61618F
	v_mul_f32_e32 v177, v143, v177                             // 0000000121F0: 0B63638F
	v_mul_f32_e32 v178, v143, v178                             // 0000000121F4: 0B65658F
	v_mul_f32_e32 v179, v143, v179                             // 0000000121F8: 0B67678F
	v_add_f32_e32 v176, 0x3089705f, v176                       // 0000000121FC: 036160FF 3089705F
	v_add_f32_e32 v177, 0x3089705f, v177                       // 000000012204: 036362FF 3089705F
	v_add_f32_e32 v178, 0x3089705f, v178                       // 00000001220C: 036564FF 3089705F
	v_add_f32_e32 v179, 0x3089705f, v179                       // 000000012214: 036766FF 3089705F
	v_rcp_f32_e32 v176, v176                                   // 00000001221C: 7F6045B0
	v_rcp_f32_e32 v177, v177                                   // 000000012220: 7F6245B1
	v_rcp_f32_e32 v178, v178                                   // 000000012224: 7F6445B2
	v_rcp_f32_e32 v179, v179                                   // 000000012228: 7F6645B3
	v_mul_f32_e32 v176, 0x43700000, v176                       // 00000001222C: 0B6160FF 43700000
	v_mul_f32_e32 v177, 0x43700000, v177                       // 000000012234: 0B6362FF 43700000
	v_mul_f32_e32 v178, 0x43700000, v178                       // 00000001223C: 0B6564FF 43700000
	v_mul_f32_e32 v179, 0x43700000, v179                       // 000000012244: 0B6766FF 43700000
	v_mul_f32_e32 v4, v176, v4                                 // 00000001224C: 0A0809B0
	v_mul_f32_e32 v5, v176, v5                                 // 000000012250: 0A0A0BB0
	v_mul_f32_e32 v6, v176, v6                                 // 000000012254: 0A0C0DB0
	v_mul_f32_e32 v7, v176, v7                                 // 000000012258: 0A0E0FB0
	v_mul_f32_e32 v8, v176, v8                                 // 00000001225C: 0A1011B0
	v_mul_f32_e32 v9, v176, v9                                 // 000000012260: 0A1213B0
	v_mul_f32_e32 v10, v176, v10                               // 000000012264: 0A1415B0
	v_mul_f32_e32 v11, v176, v11                               // 000000012268: 0A1617B0
	v_mul_f32_e32 v12, v176, v12                               // 00000001226C: 0A1819B0
	v_mul_f32_e32 v13, v176, v13                               // 000000012270: 0A1A1BB0
	v_mul_f32_e32 v14, v176, v14                               // 000000012274: 0A1C1DB0
	v_mul_f32_e32 v15, v176, v15                               // 000000012278: 0A1E1FB0
	v_mul_f32_e32 v16, v176, v16                               // 00000001227C: 0A2021B0
	v_mul_f32_e32 v17, v176, v17                               // 000000012280: 0A2223B0
	v_mul_f32_e32 v18, v176, v18                               // 000000012284: 0A2425B0
	v_mul_f32_e32 v19, v176, v19                               // 000000012288: 0A2627B0
	v_mul_f32_e32 v20, v177, v20                               // 00000001228C: 0A2829B1
	v_mul_f32_e32 v21, v177, v21                               // 000000012290: 0A2A2BB1
	v_mul_f32_e32 v22, v177, v22                               // 000000012294: 0A2C2DB1
	v_mul_f32_e32 v23, v177, v23                               // 000000012298: 0A2E2FB1
	v_mul_f32_e32 v24, v177, v24                               // 00000001229C: 0A3031B1
	v_mul_f32_e32 v25, v177, v25                               // 0000000122A0: 0A3233B1
	v_mul_f32_e32 v26, v177, v26                               // 0000000122A4: 0A3435B1
	v_mul_f32_e32 v27, v177, v27                               // 0000000122A8: 0A3637B1
	v_mul_f32_e32 v28, v177, v28                               // 0000000122AC: 0A3839B1
	v_mul_f32_e32 v29, v177, v29                               // 0000000122B0: 0A3A3BB1
	v_mul_f32_e32 v30, v177, v30                               // 0000000122B4: 0A3C3DB1
	v_mul_f32_e32 v31, v177, v31                               // 0000000122B8: 0A3E3FB1
	v_mul_f32_e32 v32, v177, v32                               // 0000000122BC: 0A4041B1
	v_mul_f32_e32 v33, v177, v33                               // 0000000122C0: 0A4243B1
	v_mul_f32_e32 v34, v177, v34                               // 0000000122C4: 0A4445B1
	v_mul_f32_e32 v35, v177, v35                               // 0000000122C8: 0A4647B1
	v_mul_f32_e32 v36, v178, v36                               // 0000000122CC: 0A4849B2
	v_mul_f32_e32 v37, v178, v37                               // 0000000122D0: 0A4A4BB2
	v_mul_f32_e32 v38, v178, v38                               // 0000000122D4: 0A4C4DB2
	v_mul_f32_e32 v39, v178, v39                               // 0000000122D8: 0A4E4FB2
	v_mul_f32_e32 v40, v178, v40                               // 0000000122DC: 0A5051B2
	v_mul_f32_e32 v41, v178, v41                               // 0000000122E0: 0A5253B2
	v_mul_f32_e32 v42, v178, v42                               // 0000000122E4: 0A5455B2
	v_mul_f32_e32 v43, v178, v43                               // 0000000122E8: 0A5657B2
	v_mul_f32_e32 v44, v178, v44                               // 0000000122EC: 0A5859B2
	v_mul_f32_e32 v45, v178, v45                               // 0000000122F0: 0A5A5BB2
	v_mul_f32_e32 v46, v178, v46                               // 0000000122F4: 0A5C5DB2
	v_mul_f32_e32 v47, v178, v47                               // 0000000122F8: 0A5E5FB2
	v_mul_f32_e32 v48, v178, v48                               // 0000000122FC: 0A6061B2
	v_mul_f32_e32 v49, v178, v49                               // 000000012300: 0A6263B2
	v_mul_f32_e32 v50, v178, v50                               // 000000012304: 0A6465B2
	v_mul_f32_e32 v51, v178, v51                               // 000000012308: 0A6667B2
	v_mul_f32_e32 v52, v179, v52                               // 00000001230C: 0A6869B3
	v_mul_f32_e32 v53, v179, v53                               // 000000012310: 0A6A6BB3
	v_mul_f32_e32 v54, v179, v54                               // 000000012314: 0A6C6DB3
	v_mul_f32_e32 v55, v179, v55                               // 000000012318: 0A6E6FB3
	v_mul_f32_e32 v56, v179, v56                               // 00000001231C: 0A7071B3
	v_mul_f32_e32 v57, v179, v57                               // 000000012320: 0A7273B3
	v_mul_f32_e32 v58, v179, v58                               // 000000012324: 0A7475B3
	v_mul_f32_e32 v59, v179, v59                               // 000000012328: 0A7677B3
	v_mul_f32_e32 v60, v179, v60                               // 00000001232C: 0A7879B3
	v_mul_f32_e32 v61, v179, v61                               // 000000012330: 0A7A7BB3
	v_mul_f32_e32 v62, v179, v62                               // 000000012334: 0A7C7DB3
	v_mul_f32_e32 v63, v179, v63                               // 000000012338: 0A7E7FB3
	v_mul_f32_e32 v64, v179, v64                               // 00000001233C: 0A8081B3
	v_mul_f32_e32 v65, v179, v65                               // 000000012340: 0A8283B3
	v_mul_f32_e32 v66, v179, v66                               // 000000012344: 0A8485B3
	v_mul_f32_e32 v67, v179, v67                               // 000000012348: 0A8687B3
	v_cvt_pk_fp8_f32 v4, v4, v5                                // 00000001234C: D2A20004 00020B04
	v_cvt_pk_fp8_f32 v4, v6, v7 op_sel:[0,0,1]                 // 000000012354: D2A24004 00020F06
	v_cvt_pk_fp8_f32 v5, v8, v9                                // 00000001235C: D2A20005 00021308
	v_cvt_pk_fp8_f32 v5, v10, v11 op_sel:[0,0,1]               // 000000012364: D2A24005 0002170A
	v_cvt_pk_fp8_f32 v6, v12, v13                              // 00000001236C: D2A20006 00021B0C
	v_cvt_pk_fp8_f32 v6, v14, v15 op_sel:[0,0,1]               // 000000012374: D2A24006 00021F0E
	v_cvt_pk_fp8_f32 v7, v16, v17                              // 00000001237C: D2A20007 00022310
	v_cvt_pk_fp8_f32 v7, v18, v19 op_sel:[0,0,1]               // 000000012384: D2A24007 00022712
	v_cvt_pk_fp8_f32 v8, v20, v21                              // 00000001238C: D2A20008 00022B14
	v_cvt_pk_fp8_f32 v8, v22, v23 op_sel:[0,0,1]               // 000000012394: D2A24008 00022F16
	v_cvt_pk_fp8_f32 v9, v24, v25                              // 00000001239C: D2A20009 00023318
	v_cvt_pk_fp8_f32 v9, v26, v27 op_sel:[0,0,1]               // 0000000123A4: D2A24009 0002371A
	v_cvt_pk_fp8_f32 v10, v28, v29                             // 0000000123AC: D2A2000A 00023B1C
	v_cvt_pk_fp8_f32 v10, v30, v31 op_sel:[0,0,1]              // 0000000123B4: D2A2400A 00023F1E
	v_cvt_pk_fp8_f32 v11, v32, v33                             // 0000000123BC: D2A2000B 00024320
	v_cvt_pk_fp8_f32 v11, v34, v35 op_sel:[0,0,1]              // 0000000123C4: D2A2400B 00024722
	v_cvt_pk_fp8_f32 v12, v36, v37                             // 0000000123CC: D2A2000C 00024B24
	v_cvt_pk_fp8_f32 v12, v38, v39 op_sel:[0,0,1]              // 0000000123D4: D2A2400C 00024F26
	v_cvt_pk_fp8_f32 v13, v40, v41                             // 0000000123DC: D2A2000D 00025328
	v_cvt_pk_fp8_f32 v13, v42, v43 op_sel:[0,0,1]              // 0000000123E4: D2A2400D 0002572A
	v_cvt_pk_fp8_f32 v14, v44, v45                             // 0000000123EC: D2A2000E 00025B2C
	v_cvt_pk_fp8_f32 v14, v46, v47 op_sel:[0,0,1]              // 0000000123F4: D2A2400E 00025F2E
	v_cvt_pk_fp8_f32 v15, v48, v49                             // 0000000123FC: D2A2000F 00026330
	v_cvt_pk_fp8_f32 v15, v50, v51 op_sel:[0,0,1]              // 000000012404: D2A2400F 00026732
	v_cvt_pk_fp8_f32 v16, v52, v53                             // 00000001240C: D2A20010 00026B34
	v_cvt_pk_fp8_f32 v16, v54, v55 op_sel:[0,0,1]              // 000000012414: D2A24010 00026F36
	v_cvt_pk_fp8_f32 v17, v56, v57                             // 00000001241C: D2A20011 00027338
	v_cvt_pk_fp8_f32 v17, v58, v59 op_sel:[0,0,1]              // 000000012424: D2A24011 0002773A
	v_cvt_pk_fp8_f32 v18, v60, v61                             // 00000001242C: D2A20012 00027B3C
	v_cvt_pk_fp8_f32 v18, v62, v63 op_sel:[0,0,1]              // 000000012434: D2A24012 00027F3E
	v_cvt_pk_fp8_f32 v19, v64, v65                             // 00000001243C: D2A20013 00028340
	v_cvt_pk_fp8_f32 v19, v66, v67 op_sel:[0,0,1]              // 000000012444: D2A24013 00028742
	ds_write_b32 v249, v4 offset:8192                          // 00000001244C: D81A2000 000004F9
	ds_write_b32 v249, v5 offset:9216                          // 000000012454: D81A2400 000005F9
	ds_write_b32 v249, v6 offset:10240                         // 00000001245C: D81A2800 000006F9
	ds_write_b32 v249, v7 offset:11264                         // 000000012464: D81A2C00 000007F9
	ds_write_b32 v249, v8 offset:12288                         // 00000001246C: D81A3000 000008F9
	ds_write_b32 v249, v9 offset:13312                         // 000000012474: D81A3400 000009F9
	ds_write_b32 v249, v10 offset:14336                        // 00000001247C: D81A3800 00000AF9
	ds_write_b32 v249, v11 offset:15360                        // 000000012484: D81A3C00 00000BF9
	ds_write_b32 v249, v12 offset:16384                        // 00000001248C: D81A4000 00000CF9
	ds_write_b32 v249, v13 offset:17408                        // 000000012494: D81A4400 00000DF9
	ds_write_b32 v249, v14 offset:18432                        // 00000001249C: D81A4800 00000EF9
	ds_write_b32 v249, v15 offset:19456                        // 0000000124A4: D81A4C00 00000FF9
	ds_write_b32 v249, v16 offset:20480                        // 0000000124AC: D81A5000 000010F9
	ds_write_b32 v249, v17 offset:21504                        // 0000000124B4: D81A5400 000011F9
	ds_write_b32 v249, v18 offset:22528                        // 0000000124BC: D81A5800 000012F9
	ds_write_b32 v249, v19 offset:23552                        // 0000000124C4: D81A5C00 000013F9
	v_rcp_f32_e32 v144, v176                                   // 0000000124CC: 7F2045B0
	v_rcp_f32_e32 v146, v177                                   // 0000000124D0: 7F2445B1
	v_rcp_f32_e32 v148, v178                                   // 0000000124D4: 7F2845B2
	v_rcp_f32_e32 v150, v179                                   // 0000000124D8: 7F2C45B3
	v_mov_b32_e32 v145, v144                                   // 0000000124DC: 7F220390
	v_mov_b32_e32 v147, v146                                   // 0000000124E0: 7F260392
	v_mov_b32_e32 v149, v148                                   // 0000000124E4: 7F2A0394
	v_mov_b32_e32 v151, v150                                   // 0000000124E8: 7F2E0396
	v_pk_add_f32 v[100:101], v[100:101], v[68:69]              // 0000000124EC: D3B24064 18028964
	v_pk_add_f32 v[102:103], v[102:103], v[70:71]              // 0000000124F4: D3B24066 18028D66
	v_pk_add_f32 v[104:105], v[104:105], v[72:73]              // 0000000124FC: D3B24068 18029168
	v_pk_add_f32 v[106:107], v[106:107], v[74:75]              // 000000012504: D3B2406A 1802956A
	v_pk_add_f32 v[108:109], v[108:109], v[76:77]              // 00000001250C: D3B2406C 1802996C
	v_pk_add_f32 v[110:111], v[110:111], v[78:79]              // 000000012514: D3B2406E 18029D6E
	v_pk_add_f32 v[112:113], v[112:113], v[80:81]              // 00000001251C: D3B24070 1802A170
	v_pk_add_f32 v[114:115], v[114:115], v[82:83]              // 000000012524: D3B24072 1802A572
	v_pk_add_f32 v[116:117], v[116:117], v[84:85]              // 00000001252C: D3B24074 1802A974
	v_pk_add_f32 v[118:119], v[118:119], v[86:87]              // 000000012534: D3B24076 1802AD76
	v_pk_add_f32 v[120:121], v[120:121], v[88:89]              // 00000001253C: D3B24078 1802B178
	v_pk_add_f32 v[122:123], v[122:123], v[90:91]              // 000000012544: D3B2407A 1802B57A
	v_pk_add_f32 v[124:125], v[124:125], v[92:93]              // 00000001254C: D3B2407C 1802B97C
	v_pk_add_f32 v[126:127], v[126:127], v[94:95]              // 000000012554: D3B2407E 1802BD7E
	v_pk_add_f32 v[128:129], v[128:129], v[96:97]              // 00000001255C: D3B24080 1802C180
	v_pk_add_f32 v[130:131], v[130:131], v[98:99]              // 000000012564: D3B24082 1802C582
	s_waitcnt lgkmcnt(0)                                       // 00000001256C: BF8CC07F
	s_barrier                                                  // 000000012570: BF8A0000
	ds_read_b128 v[4:7], v250 offset:8192                      // 000000012574: D9FE2000 040000FA
	ds_read_b128 v[8:11], v250 offset:9216                     // 00000001257C: D9FE2400 080000FA
	ds_read_b128 v[12:15], v250 offset:10240                   // 000000012584: D9FE2800 0C0000FA
	ds_read_b128 v[16:19], v250 offset:11264                   // 00000001258C: D9FE2C00 100000FA
	ds_read_b128 v[20:23], v250 offset:12288                   // 000000012594: D9FE3000 140000FA
	ds_read_b128 v[24:27], v250 offset:13312                   // 00000001259C: D9FE3400 180000FA
	ds_read_b128 v[28:31], v250 offset:14336                   // 0000000125A4: D9FE3800 1C0000FA
	ds_read_b128 v[32:35], v250 offset:15360                   // 0000000125AC: D9FE3C00 200000FA
	ds_read_b128 v[36:39], v250 offset:16384                   // 0000000125B4: D9FE4000 240000FA
	ds_read_b128 v[40:43], v250 offset:17408                   // 0000000125BC: D9FE4400 280000FA
	ds_read_b128 v[44:47], v250 offset:18432                   // 0000000125C4: D9FE4800 2C0000FA
	ds_read_b128 v[48:51], v250 offset:19456                   // 0000000125CC: D9FE4C00 300000FA
	ds_read_b128 v[52:55], v250 offset:20480                   // 0000000125D4: D9FE5000 340000FA
	ds_read_b128 v[56:59], v250 offset:21504                   // 0000000125DC: D9FE5400 380000FA
	ds_read_b128 v[60:63], v250 offset:22528                   // 0000000125E4: D9FE5800 3C0000FA
	ds_read_b128 v[64:67], v250 offset:23552                   // 0000000125EC: D9FE5C00 400000FA
	s_waitcnt vmcnt(10)                                        // 0000000125F4: BF8C0F7A
	v_lshrrev_b32_e32 v203, 4, v0                              // 0000000125F8: 21960084
	v_lshlrev_b32_e32 v203, 4, v203                            // 0000000125FC: 25979684
	v_add_u32_e32 v196, s64, v203                              // 000000012600: 69899640
	v_add_u32_e32 v196, 4, v196                                // 000000012604: 69898884
	v_sub_i32 v196, v196, s62                                  // 000000012608: D29D00C4 00007DC4
	s_mov_b32 s54, 0                                           // 000000012610: BEB60080
	v_add_i32 v197, s54, v196                                  // 000000012614: D29C00C5 00038836
	v_cmp_lt_i32_e64 vcc, v197, 4                              // 00000001261C: D0C1006A 000109C5
	v_min_u32_e32 v197, 4, v197                                // 000000012624: 1D8B8A84
	v_lshlrev_b32_e32 v197, 3, v197                            // 000000012628: 258B8A83
	v_lshrrev_b32_e64 v198, v197, -1                           // 00000001262C: D11000C6 000183C5
	v_accvgpr_read_b32 v199, a128                              // 000000012634: D3D840C7 18000180
	v_cndmask_b32_e32 v199, 0, v199, vcc                       // 00000001263C: 018F8E80
	v_and_b32_e32 v199, v199, v198                             // 000000012640: 278F8DC7
	v_accvgpr_write_b32 a128, v199                             // 000000012644: D3D94080 180001C7
	v_accvgpr_read_b32 v199, a144                              // 00000001264C: D3D840C7 18000190
	v_cndmask_b32_e32 v199, 0, v199, vcc                       // 000000012654: 018F8E80
	v_and_b32_e32 v199, v199, v198                             // 000000012658: 278F8DC7
	v_accvgpr_write_b32 a144, v199                             // 00000001265C: D3D94090 180001C7
	s_mov_b32 s54, 4                                           // 000000012664: BEB60084
	v_add_i32 v197, s54, v196                                  // 000000012668: D29C00C5 00038836
	v_cmp_lt_i32_e64 vcc, v197, 4                              // 000000012670: D0C1006A 000109C5
	v_min_u32_e32 v197, 4, v197                                // 000000012678: 1D8B8A84
	v_lshlrev_b32_e32 v197, 3, v197                            // 00000001267C: 258B8A83
	v_lshrrev_b32_e64 v198, v197, -1                           // 000000012680: D11000C6 000183C5
	v_accvgpr_read_b32 v199, a129                              // 000000012688: D3D840C7 18000181
	v_cndmask_b32_e32 v199, 0, v199, vcc                       // 000000012690: 018F8E80
	v_and_b32_e32 v199, v199, v198                             // 000000012694: 278F8DC7
	v_accvgpr_write_b32 a129, v199                             // 000000012698: D3D94081 180001C7
	v_accvgpr_read_b32 v199, a145                              // 0000000126A0: D3D840C7 18000191
	v_cndmask_b32_e32 v199, 0, v199, vcc                       // 0000000126A8: 018F8E80
	v_and_b32_e32 v199, v199, v198                             // 0000000126AC: 278F8DC7
	v_accvgpr_write_b32 a145, v199                             // 0000000126B0: D3D94091 180001C7
	s_mov_b32 s54, 8                                           // 0000000126B8: BEB60088
	v_add_i32 v197, s54, v196                                  // 0000000126BC: D29C00C5 00038836
	v_cmp_lt_i32_e64 vcc, v197, 4                              // 0000000126C4: D0C1006A 000109C5
	v_min_u32_e32 v197, 4, v197                                // 0000000126CC: 1D8B8A84
	v_lshlrev_b32_e32 v197, 3, v197                            // 0000000126D0: 258B8A83
	v_lshrrev_b32_e64 v198, v197, -1                           // 0000000126D4: D11000C6 000183C5
	v_accvgpr_read_b32 v199, a130                              // 0000000126DC: D3D840C7 18000182
	v_cndmask_b32_e32 v199, 0, v199, vcc                       // 0000000126E4: 018F8E80
	v_and_b32_e32 v199, v199, v198                             // 0000000126E8: 278F8DC7
	v_accvgpr_write_b32 a130, v199                             // 0000000126EC: D3D94082 180001C7
	v_accvgpr_read_b32 v199, a146                              // 0000000126F4: D3D840C7 18000192
	v_cndmask_b32_e32 v199, 0, v199, vcc                       // 0000000126FC: 018F8E80
	v_and_b32_e32 v199, v199, v198                             // 000000012700: 278F8DC7
	v_accvgpr_write_b32 a146, v199                             // 000000012704: D3D94092 180001C7
	s_mov_b32 s54, 12                                          // 00000001270C: BEB6008C
	v_add_i32 v197, s54, v196                                  // 000000012710: D29C00C5 00038836
	v_cmp_lt_i32_e64 vcc, v197, 4                              // 000000012718: D0C1006A 000109C5
	v_min_u32_e32 v197, 4, v197                                // 000000012720: 1D8B8A84
	v_lshlrev_b32_e32 v197, 3, v197                            // 000000012724: 258B8A83
	v_lshrrev_b32_e64 v198, v197, -1                           // 000000012728: D11000C6 000183C5
	v_accvgpr_read_b32 v199, a131                              // 000000012730: D3D840C7 18000183
	v_cndmask_b32_e32 v199, 0, v199, vcc                       // 000000012738: 018F8E80
	v_and_b32_e32 v199, v199, v198                             // 00000001273C: 278F8DC7
	v_accvgpr_write_b32 a131, v199                             // 000000012740: D3D94083 180001C7
	v_accvgpr_read_b32 v199, a147                              // 000000012748: D3D840C7 18000193
	v_cndmask_b32_e32 v199, 0, v199, vcc                       // 000000012750: 018F8E80
	v_and_b32_e32 v199, v199, v198                             // 000000012754: 278F8DC7
	v_accvgpr_write_b32 a147, v199                             // 000000012758: D3D94093 180001C7
	s_mov_b32 s54, 64                                          // 000000012760: BEB600C0
	v_add_i32 v197, s54, v196                                  // 000000012764: D29C00C5 00038836
	v_cmp_lt_i32_e64 vcc, v197, 4                              // 00000001276C: D0C1006A 000109C5
	v_min_u32_e32 v197, 4, v197                                // 000000012774: 1D8B8A84
	v_lshlrev_b32_e32 v197, 3, v197                            // 000000012778: 258B8A83
	v_lshrrev_b32_e64 v198, v197, -1                           // 00000001277C: D11000C6 000183C5
	v_accvgpr_read_b32 v199, a132                              // 000000012784: D3D840C7 18000184
	v_cndmask_b32_e32 v199, 0, v199, vcc                       // 00000001278C: 018F8E80
	v_and_b32_e32 v199, v199, v198                             // 000000012790: 278F8DC7
	v_accvgpr_write_b32 a132, v199                             // 000000012794: D3D94084 180001C7
	v_accvgpr_read_b32 v199, a148                              // 00000001279C: D3D840C7 18000194
	v_cndmask_b32_e32 v199, 0, v199, vcc                       // 0000000127A4: 018F8E80
	v_and_b32_e32 v199, v199, v198                             // 0000000127A8: 278F8DC7
	v_accvgpr_write_b32 a148, v199                             // 0000000127AC: D3D94094 180001C7
	s_mov_b32 s54, 0x44                                        // 0000000127B4: BEB600FF 00000044
	v_add_i32 v197, s54, v196                                  // 0000000127BC: D29C00C5 00038836
	v_cmp_lt_i32_e64 vcc, v197, 4                              // 0000000127C4: D0C1006A 000109C5
	v_min_u32_e32 v197, 4, v197                                // 0000000127CC: 1D8B8A84
	v_lshlrev_b32_e32 v197, 3, v197                            // 0000000127D0: 258B8A83
	v_lshrrev_b32_e64 v198, v197, -1                           // 0000000127D4: D11000C6 000183C5
	v_accvgpr_read_b32 v199, a133                              // 0000000127DC: D3D840C7 18000185
	v_cndmask_b32_e32 v199, 0, v199, vcc                       // 0000000127E4: 018F8E80
	v_and_b32_e32 v199, v199, v198                             // 0000000127E8: 278F8DC7
	v_accvgpr_write_b32 a133, v199                             // 0000000127EC: D3D94085 180001C7
	v_accvgpr_read_b32 v199, a149                              // 0000000127F4: D3D840C7 18000195
	v_cndmask_b32_e32 v199, 0, v199, vcc                       // 0000000127FC: 018F8E80
	v_and_b32_e32 v199, v199, v198                             // 000000012800: 278F8DC7
	v_accvgpr_write_b32 a149, v199                             // 000000012804: D3D94095 180001C7
	s_mov_b32 s54, 0x48                                        // 00000001280C: BEB600FF 00000048
	v_add_i32 v197, s54, v196                                  // 000000012814: D29C00C5 00038836
	v_cmp_lt_i32_e64 vcc, v197, 4                              // 00000001281C: D0C1006A 000109C5
	v_min_u32_e32 v197, 4, v197                                // 000000012824: 1D8B8A84
	v_lshlrev_b32_e32 v197, 3, v197                            // 000000012828: 258B8A83
	v_lshrrev_b32_e64 v198, v197, -1                           // 00000001282C: D11000C6 000183C5
	v_accvgpr_read_b32 v199, a134                              // 000000012834: D3D840C7 18000186
	v_cndmask_b32_e32 v199, 0, v199, vcc                       // 00000001283C: 018F8E80
	v_and_b32_e32 v199, v199, v198                             // 000000012840: 278F8DC7
	v_accvgpr_write_b32 a134, v199                             // 000000012844: D3D94086 180001C7
	v_accvgpr_read_b32 v199, a150                              // 00000001284C: D3D840C7 18000196
	v_cndmask_b32_e32 v199, 0, v199, vcc                       // 000000012854: 018F8E80
	v_and_b32_e32 v199, v199, v198                             // 000000012858: 278F8DC7
	v_accvgpr_write_b32 a150, v199                             // 00000001285C: D3D94096 180001C7
	s_mov_b32 s54, 0x4c                                        // 000000012864: BEB600FF 0000004C
	v_add_i32 v197, s54, v196                                  // 00000001286C: D29C00C5 00038836
	v_cmp_lt_i32_e64 vcc, v197, 4                              // 000000012874: D0C1006A 000109C5
	v_min_u32_e32 v197, 4, v197                                // 00000001287C: 1D8B8A84
	v_lshlrev_b32_e32 v197, 3, v197                            // 000000012880: 258B8A83
	v_lshrrev_b32_e64 v198, v197, -1                           // 000000012884: D11000C6 000183C5
	v_accvgpr_read_b32 v199, a135                              // 00000001288C: D3D840C7 18000187
	v_cndmask_b32_e32 v199, 0, v199, vcc                       // 000000012894: 018F8E80
	v_and_b32_e32 v199, v199, v198                             // 000000012898: 278F8DC7
	v_accvgpr_write_b32 a135, v199                             // 00000001289C: D3D94087 180001C7
	v_accvgpr_read_b32 v199, a151                              // 0000000128A4: D3D840C7 18000197
	v_cndmask_b32_e32 v199, 0, v199, vcc                       // 0000000128AC: 018F8E80
	v_and_b32_e32 v199, v199, v198                             // 0000000128B0: 278F8DC7
	v_accvgpr_write_b32 a151, v199                             // 0000000128B4: D3D94097 180001C7
	s_mov_b32 s54, 0x80                                        // 0000000128BC: BEB600FF 00000080
	v_add_i32 v197, s54, v196                                  // 0000000128C4: D29C00C5 00038836
	v_cmp_lt_i32_e64 vcc, v197, 4                              // 0000000128CC: D0C1006A 000109C5
	v_min_u32_e32 v197, 4, v197                                // 0000000128D4: 1D8B8A84
	v_lshlrev_b32_e32 v197, 3, v197                            // 0000000128D8: 258B8A83
	v_lshrrev_b32_e64 v198, v197, -1                           // 0000000128DC: D11000C6 000183C5
	v_accvgpr_read_b32 v199, a136                              // 0000000128E4: D3D840C7 18000188
	v_cndmask_b32_e32 v199, 0, v199, vcc                       // 0000000128EC: 018F8E80
	v_and_b32_e32 v199, v199, v198                             // 0000000128F0: 278F8DC7
	v_accvgpr_write_b32 a136, v199                             // 0000000128F4: D3D94088 180001C7
	v_accvgpr_read_b32 v199, a152                              // 0000000128FC: D3D840C7 18000198
	v_cndmask_b32_e32 v199, 0, v199, vcc                       // 000000012904: 018F8E80
	v_and_b32_e32 v199, v199, v198                             // 000000012908: 278F8DC7
	v_accvgpr_write_b32 a152, v199                             // 00000001290C: D3D94098 180001C7
	s_mov_b32 s54, 0x84                                        // 000000012914: BEB600FF 00000084
	v_add_i32 v197, s54, v196                                  // 00000001291C: D29C00C5 00038836
	v_cmp_lt_i32_e64 vcc, v197, 4                              // 000000012924: D0C1006A 000109C5
	v_min_u32_e32 v197, 4, v197                                // 00000001292C: 1D8B8A84
	v_lshlrev_b32_e32 v197, 3, v197                            // 000000012930: 258B8A83
	v_lshrrev_b32_e64 v198, v197, -1                           // 000000012934: D11000C6 000183C5
	v_accvgpr_read_b32 v199, a137                              // 00000001293C: D3D840C7 18000189
	v_cndmask_b32_e32 v199, 0, v199, vcc                       // 000000012944: 018F8E80
	v_and_b32_e32 v199, v199, v198                             // 000000012948: 278F8DC7
	v_accvgpr_write_b32 a137, v199                             // 00000001294C: D3D94089 180001C7
	v_accvgpr_read_b32 v199, a153                              // 000000012954: D3D840C7 18000199
	v_cndmask_b32_e32 v199, 0, v199, vcc                       // 00000001295C: 018F8E80
	v_and_b32_e32 v199, v199, v198                             // 000000012960: 278F8DC7
	v_accvgpr_write_b32 a153, v199                             // 000000012964: D3D94099 180001C7
	s_mov_b32 s54, 0x88                                        // 00000001296C: BEB600FF 00000088
	v_add_i32 v197, s54, v196                                  // 000000012974: D29C00C5 00038836
	v_cmp_lt_i32_e64 vcc, v197, 4                              // 00000001297C: D0C1006A 000109C5
	v_min_u32_e32 v197, 4, v197                                // 000000012984: 1D8B8A84
	v_lshlrev_b32_e32 v197, 3, v197                            // 000000012988: 258B8A83
	v_lshrrev_b32_e64 v198, v197, -1                           // 00000001298C: D11000C6 000183C5
	v_accvgpr_read_b32 v199, a138                              // 000000012994: D3D840C7 1800018A
	v_cndmask_b32_e32 v199, 0, v199, vcc                       // 00000001299C: 018F8E80
	v_and_b32_e32 v199, v199, v198                             // 0000000129A0: 278F8DC7
	v_accvgpr_write_b32 a138, v199                             // 0000000129A4: D3D9408A 180001C7
	v_accvgpr_read_b32 v199, a154                              // 0000000129AC: D3D840C7 1800019A
	v_cndmask_b32_e32 v199, 0, v199, vcc                       // 0000000129B4: 018F8E80
	v_and_b32_e32 v199, v199, v198                             // 0000000129B8: 278F8DC7
	v_accvgpr_write_b32 a154, v199                             // 0000000129BC: D3D9409A 180001C7
	s_mov_b32 s54, 0x8c                                        // 0000000129C4: BEB600FF 0000008C
	v_add_i32 v197, s54, v196                                  // 0000000129CC: D29C00C5 00038836
	v_cmp_lt_i32_e64 vcc, v197, 4                              // 0000000129D4: D0C1006A 000109C5
	v_min_u32_e32 v197, 4, v197                                // 0000000129DC: 1D8B8A84
	v_lshlrev_b32_e32 v197, 3, v197                            // 0000000129E0: 258B8A83
	v_lshrrev_b32_e64 v198, v197, -1                           // 0000000129E4: D11000C6 000183C5
	v_accvgpr_read_b32 v199, a139                              // 0000000129EC: D3D840C7 1800018B
	v_cndmask_b32_e32 v199, 0, v199, vcc                       // 0000000129F4: 018F8E80
	v_and_b32_e32 v199, v199, v198                             // 0000000129F8: 278F8DC7
	v_accvgpr_write_b32 a139, v199                             // 0000000129FC: D3D9408B 180001C7
	v_accvgpr_read_b32 v199, a155                              // 000000012A04: D3D840C7 1800019B
	v_cndmask_b32_e32 v199, 0, v199, vcc                       // 000000012A0C: 018F8E80
	v_and_b32_e32 v199, v199, v198                             // 000000012A10: 278F8DC7
	v_accvgpr_write_b32 a155, v199                             // 000000012A14: D3D9409B 180001C7
	s_mov_b32 s54, 0xc0                                        // 000000012A1C: BEB600FF 000000C0
	v_add_i32 v197, s54, v196                                  // 000000012A24: D29C00C5 00038836
	v_cmp_lt_i32_e64 vcc, v197, 4                              // 000000012A2C: D0C1006A 000109C5
	v_min_u32_e32 v197, 4, v197                                // 000000012A34: 1D8B8A84
	v_lshlrev_b32_e32 v197, 3, v197                            // 000000012A38: 258B8A83
	v_lshrrev_b32_e64 v198, v197, -1                           // 000000012A3C: D11000C6 000183C5
	v_accvgpr_read_b32 v199, a140                              // 000000012A44: D3D840C7 1800018C
	v_cndmask_b32_e32 v199, 0, v199, vcc                       // 000000012A4C: 018F8E80
	v_and_b32_e32 v199, v199, v198                             // 000000012A50: 278F8DC7
	v_accvgpr_write_b32 a140, v199                             // 000000012A54: D3D9408C 180001C7
	v_accvgpr_read_b32 v199, a156                              // 000000012A5C: D3D840C7 1800019C
	v_cndmask_b32_e32 v199, 0, v199, vcc                       // 000000012A64: 018F8E80
	v_and_b32_e32 v199, v199, v198                             // 000000012A68: 278F8DC7
	v_accvgpr_write_b32 a156, v199                             // 000000012A6C: D3D9409C 180001C7
	s_mov_b32 s54, 0xc4                                        // 000000012A74: BEB600FF 000000C4
	v_add_i32 v197, s54, v196                                  // 000000012A7C: D29C00C5 00038836
	v_cmp_lt_i32_e64 vcc, v197, 4                              // 000000012A84: D0C1006A 000109C5
	v_min_u32_e32 v197, 4, v197                                // 000000012A8C: 1D8B8A84
	v_lshlrev_b32_e32 v197, 3, v197                            // 000000012A90: 258B8A83
	v_lshrrev_b32_e64 v198, v197, -1                           // 000000012A94: D11000C6 000183C5
	v_accvgpr_read_b32 v199, a141                              // 000000012A9C: D3D840C7 1800018D
	v_cndmask_b32_e32 v199, 0, v199, vcc                       // 000000012AA4: 018F8E80
	v_and_b32_e32 v199, v199, v198                             // 000000012AA8: 278F8DC7
	v_accvgpr_write_b32 a141, v199                             // 000000012AAC: D3D9408D 180001C7
	v_accvgpr_read_b32 v199, a157                              // 000000012AB4: D3D840C7 1800019D
	v_cndmask_b32_e32 v199, 0, v199, vcc                       // 000000012ABC: 018F8E80
	v_and_b32_e32 v199, v199, v198                             // 000000012AC0: 278F8DC7
	v_accvgpr_write_b32 a157, v199                             // 000000012AC4: D3D9409D 180001C7
	s_mov_b32 s54, 0xc8                                        // 000000012ACC: BEB600FF 000000C8
	v_add_i32 v197, s54, v196                                  // 000000012AD4: D29C00C5 00038836
	v_cmp_lt_i32_e64 vcc, v197, 4                              // 000000012ADC: D0C1006A 000109C5
	v_min_u32_e32 v197, 4, v197                                // 000000012AE4: 1D8B8A84
	v_lshlrev_b32_e32 v197, 3, v197                            // 000000012AE8: 258B8A83
	v_lshrrev_b32_e64 v198, v197, -1                           // 000000012AEC: D11000C6 000183C5
	v_accvgpr_read_b32 v199, a142                              // 000000012AF4: D3D840C7 1800018E
	v_cndmask_b32_e32 v199, 0, v199, vcc                       // 000000012AFC: 018F8E80
	v_and_b32_e32 v199, v199, v198                             // 000000012B00: 278F8DC7
	v_accvgpr_write_b32 a142, v199                             // 000000012B04: D3D9408E 180001C7
	v_accvgpr_read_b32 v199, a158                              // 000000012B0C: D3D840C7 1800019E
	v_cndmask_b32_e32 v199, 0, v199, vcc                       // 000000012B14: 018F8E80
	v_and_b32_e32 v199, v199, v198                             // 000000012B18: 278F8DC7
	v_accvgpr_write_b32 a158, v199                             // 000000012B1C: D3D9409E 180001C7
	s_mov_b32 s54, 0xcc                                        // 000000012B24: BEB600FF 000000CC
	v_add_i32 v197, s54, v196                                  // 000000012B2C: D29C00C5 00038836
	v_cmp_lt_i32_e64 vcc, v197, 4                              // 000000012B34: D0C1006A 000109C5
	v_min_u32_e32 v197, 4, v197                                // 000000012B3C: 1D8B8A84
	v_lshlrev_b32_e32 v197, 3, v197                            // 000000012B40: 258B8A83
	v_lshrrev_b32_e64 v198, v197, -1                           // 000000012B44: D11000C6 000183C5
	v_accvgpr_read_b32 v199, a143                              // 000000012B4C: D3D840C7 1800018F
	v_cndmask_b32_e32 v199, 0, v199, vcc                       // 000000012B54: 018F8E80
	v_and_b32_e32 v199, v199, v198                             // 000000012B58: 278F8DC7
	v_accvgpr_write_b32 a143, v199                             // 000000012B5C: D3D9408F 180001C7
	v_accvgpr_read_b32 v199, a159                              // 000000012B64: D3D840C7 1800019F
	v_cndmask_b32_e32 v199, 0, v199, vcc                       // 000000012B6C: 018F8E80
	v_and_b32_e32 v199, v199, v198                             // 000000012B70: 278F8DC7
	v_accvgpr_write_b32 a159, v199                             // 000000012B74: D3D9409F 180001C7
	s_waitcnt vmcnt(63) expcnt(7) lgkmcnt(15)                  // 000000012B7C: BF8CCF7F
	v_mfma_f32_16x16x32_fp8_fp8 v[68:71], a[128:129], v[4:5], 0// 000000012B80: D3F30044 0A020980
	v_mfma_f32_16x16x32_fp8_fp8 v[72:75], a[144:145], v[4:5], 0// 000000012B88: D3F30048 0A020990
	v_mfma_f32_16x16x32_fp8_fp8 v[68:71], a[130:131], v[6:7], v[68:71]// 000000012B90: D3F30044 0D120D82
	buffer_load_dwordx4 a[96:99], v227, s[16:19], 0 offen      // 000000012B98: E05C1000 808460E3
	v_mfma_f32_16x16x32_fp8_fp8 v[72:75], a[146:147], v[6:7], v[72:75]// 000000012BA0: D3F30048 0D220D92
	s_waitcnt lgkmcnt(14)                                      // 000000012BA8: BF8CCE7F
	v_mfma_f32_16x16x32_fp8_fp8 v[68:71], a[132:133], v[8:9], v[68:71]// 000000012BAC: D3F30044 0D121184
	v_mfma_f32_16x16x32_fp8_fp8 v[72:75], a[148:149], v[8:9], v[72:75]// 000000012BB4: D3F30048 0D221194
	v_mfma_f32_16x16x32_fp8_fp8 v[68:71], a[134:135], v[10:11], v[68:71]// 000000012BBC: D3F30044 0D121586
	buffer_load_dwordx4 a[100:103], v228, s[16:19], 0 offen    // 000000012BC4: E05C1000 808464E4
	v_mfma_f32_16x16x32_fp8_fp8 v[72:75], a[150:151], v[10:11], v[72:75]// 000000012BCC: D3F30048 0D221596
	s_waitcnt lgkmcnt(13)                                      // 000000012BD4: BF8CCD7F
	v_mfma_f32_16x16x32_fp8_fp8 v[68:71], a[136:137], v[12:13], v[68:71]// 000000012BD8: D3F30044 0D121988
	v_mfma_f32_16x16x32_fp8_fp8 v[72:75], a[152:153], v[12:13], v[72:75]// 000000012BE0: D3F30048 0D221998
	v_mfma_f32_16x16x32_fp8_fp8 v[68:71], a[138:139], v[14:15], v[68:71]// 000000012BE8: D3F30044 0D121D8A
	buffer_load_dwordx4 a[104:107], v229, s[16:19], 0 offen    // 000000012BF0: E05C1000 808468E5
	v_mfma_f32_16x16x32_fp8_fp8 v[72:75], a[154:155], v[14:15], v[72:75]// 000000012BF8: D3F30048 0D221D9A
	s_waitcnt lgkmcnt(12)                                      // 000000012C00: BF8CCC7F
	v_mfma_f32_16x16x32_fp8_fp8 v[68:71], a[140:141], v[16:17], v[68:71]// 000000012C04: D3F30044 0D12218C
	v_mfma_f32_16x16x32_fp8_fp8 v[72:75], a[156:157], v[16:17], v[72:75]// 000000012C0C: D3F30048 0D22219C
	v_mfma_f32_16x16x32_fp8_fp8 v[68:71], a[142:143], v[18:19], v[68:71]// 000000012C14: D3F30044 0D12258E
	buffer_load_dwordx4 a[108:111], v230, s[16:19], 0 offen    // 000000012C1C: E05C1000 80846CE6
	v_mfma_f32_16x16x32_fp8_fp8 v[72:75], a[158:159], v[18:19], v[72:75]// 000000012C24: D3F30048 0D22259E
	s_waitcnt lgkmcnt(11)                                      // 000000012C2C: BF8CCB7F
	v_mfma_f32_16x16x32_fp8_fp8 v[76:79], a[128:129], v[20:21], 0// 000000012C30: D3F3004C 0A022980
	v_mfma_f32_16x16x32_fp8_fp8 v[80:83], a[144:145], v[20:21], 0// 000000012C38: D3F30050 0A022990
	v_mfma_f32_16x16x32_fp8_fp8 v[76:79], a[130:131], v[22:23], v[76:79]// 000000012C40: D3F3004C 0D322D82
	buffer_load_dwordx4 a[112:115], v227, s[16:19], 0 offen offset:1024// 000000012C48: E05C1400 808470E3
	v_mfma_f32_16x16x32_fp8_fp8 v[80:83], a[146:147], v[22:23], v[80:83]// 000000012C50: D3F30050 0D422D92
	s_waitcnt lgkmcnt(10)                                      // 000000012C58: BF8CCA7F
	v_mfma_f32_16x16x32_fp8_fp8 v[76:79], a[132:133], v[24:25], v[76:79]// 000000012C5C: D3F3004C 0D323184
	v_mfma_f32_16x16x32_fp8_fp8 v[80:83], a[148:149], v[24:25], v[80:83]// 000000012C64: D3F30050 0D423194
	v_mfma_f32_16x16x32_fp8_fp8 v[76:79], a[134:135], v[26:27], v[76:79]// 000000012C6C: D3F3004C 0D323586
	buffer_load_dwordx4 a[116:119], v228, s[16:19], 0 offen offset:1024// 000000012C74: E05C1400 808474E4
	v_mfma_f32_16x16x32_fp8_fp8 v[80:83], a[150:151], v[26:27], v[80:83]// 000000012C7C: D3F30050 0D423596
	s_waitcnt lgkmcnt(9)                                       // 000000012C84: BF8CC97F
	v_mfma_f32_16x16x32_fp8_fp8 v[76:79], a[136:137], v[28:29], v[76:79]// 000000012C88: D3F3004C 0D323988
	v_mfma_f32_16x16x32_fp8_fp8 v[80:83], a[152:153], v[28:29], v[80:83]// 000000012C90: D3F30050 0D423998
	v_mfma_f32_16x16x32_fp8_fp8 v[76:79], a[138:139], v[30:31], v[76:79]// 000000012C98: D3F3004C 0D323D8A
	buffer_load_dwordx4 a[120:123], v229, s[16:19], 0 offen offset:1024// 000000012CA0: E05C1400 808478E5
	v_mfma_f32_16x16x32_fp8_fp8 v[80:83], a[154:155], v[30:31], v[80:83]// 000000012CA8: D3F30050 0D423D9A
	s_waitcnt lgkmcnt(8)                                       // 000000012CB0: BF8CC87F
	v_mfma_f32_16x16x32_fp8_fp8 v[76:79], a[140:141], v[32:33], v[76:79]// 000000012CB4: D3F3004C 0D32418C
	v_mfma_f32_16x16x32_fp8_fp8 v[80:83], a[156:157], v[32:33], v[80:83]// 000000012CBC: D3F30050 0D42419C
	v_mfma_f32_16x16x32_fp8_fp8 v[76:79], a[142:143], v[34:35], v[76:79]// 000000012CC4: D3F3004C 0D32458E
	buffer_load_dwordx4 a[124:127], v230, s[16:19], 0 offen offset:1024// 000000012CCC: E05C1400 80847CE6
	v_mfma_f32_16x16x32_fp8_fp8 v[80:83], a[158:159], v[34:35], v[80:83]// 000000012CD4: D3F30050 0D42459E
	s_waitcnt lgkmcnt(7)                                       // 000000012CDC: BF8CC77F
	v_mfma_f32_16x16x32_fp8_fp8 v[84:87], a[128:129], v[36:37], 0// 000000012CE0: D3F30054 0A024980
	v_mfma_f32_16x16x32_fp8_fp8 v[88:91], a[144:145], v[36:37], 0// 000000012CE8: D3F30058 0A024990
	v_mfma_f32_16x16x32_fp8_fp8 v[84:87], a[130:131], v[38:39], v[84:87]// 000000012CF0: D3F30054 0D524D82
	v_mfma_f32_16x16x32_fp8_fp8 v[88:91], a[146:147], v[38:39], v[88:91]// 000000012CF8: D3F30058 0D624D92
	s_waitcnt lgkmcnt(6)                                       // 000000012D00: BF8CC67F
	v_mfma_f32_16x16x32_fp8_fp8 v[84:87], a[132:133], v[40:41], v[84:87]// 000000012D04: D3F30054 0D525184
	v_mfma_f32_16x16x32_fp8_fp8 v[88:91], a[148:149], v[40:41], v[88:91]// 000000012D0C: D3F30058 0D625194
	v_mfma_f32_16x16x32_fp8_fp8 v[84:87], a[134:135], v[42:43], v[84:87]// 000000012D14: D3F30054 0D525586
	v_mfma_f32_16x16x32_fp8_fp8 v[88:91], a[150:151], v[42:43], v[88:91]// 000000012D1C: D3F30058 0D625596
	s_waitcnt lgkmcnt(5)                                       // 000000012D24: BF8CC57F
	v_mfma_f32_16x16x32_fp8_fp8 v[84:87], a[136:137], v[44:45], v[84:87]// 000000012D28: D3F30054 0D525988
	v_mfma_f32_16x16x32_fp8_fp8 v[88:91], a[152:153], v[44:45], v[88:91]// 000000012D30: D3F30058 0D625998
	v_mfma_f32_16x16x32_fp8_fp8 v[84:87], a[138:139], v[46:47], v[84:87]// 000000012D38: D3F30054 0D525D8A
	v_mfma_f32_16x16x32_fp8_fp8 v[88:91], a[154:155], v[46:47], v[88:91]// 000000012D40: D3F30058 0D625D9A
	s_waitcnt lgkmcnt(4)                                       // 000000012D48: BF8CC47F
	v_mfma_f32_16x16x32_fp8_fp8 v[84:87], a[140:141], v[48:49], v[84:87]// 000000012D4C: D3F30054 0D52618C
	v_mfma_f32_16x16x32_fp8_fp8 v[88:91], a[156:157], v[48:49], v[88:91]// 000000012D54: D3F30058 0D62619C
	v_mfma_f32_16x16x32_fp8_fp8 v[84:87], a[142:143], v[50:51], v[84:87]// 000000012D5C: D3F30054 0D52658E
	v_mfma_f32_16x16x32_fp8_fp8 v[88:91], a[158:159], v[50:51], v[88:91]// 000000012D64: D3F30058 0D62659E
	s_waitcnt lgkmcnt(3)                                       // 000000012D6C: BF8CC37F
	v_mfma_f32_16x16x32_fp8_fp8 v[92:95], a[128:129], v[52:53], 0// 000000012D70: D3F3005C 0A026980
	v_mfma_f32_16x16x32_fp8_fp8 v[96:99], a[144:145], v[52:53], 0// 000000012D78: D3F30060 0A026990
	v_mfma_f32_16x16x32_fp8_fp8 v[92:95], a[130:131], v[54:55], v[92:95]// 000000012D80: D3F3005C 0D726D82
	v_mfma_f32_16x16x32_fp8_fp8 v[96:99], a[146:147], v[54:55], v[96:99]// 000000012D88: D3F30060 0D826D92
	s_waitcnt lgkmcnt(2)                                       // 000000012D90: BF8CC27F
	v_mfma_f32_16x16x32_fp8_fp8 v[92:95], a[132:133], v[56:57], v[92:95]// 000000012D94: D3F3005C 0D727184
	v_mfma_f32_16x16x32_fp8_fp8 v[96:99], a[148:149], v[56:57], v[96:99]// 000000012D9C: D3F30060 0D827194
	v_mfma_f32_16x16x32_fp8_fp8 v[92:95], a[134:135], v[58:59], v[92:95]// 000000012DA4: D3F3005C 0D727586
	v_mfma_f32_16x16x32_fp8_fp8 v[96:99], a[150:151], v[58:59], v[96:99]// 000000012DAC: D3F30060 0D827596
	s_waitcnt lgkmcnt(1)                                       // 000000012DB4: BF8CC17F
	v_mfma_f32_16x16x32_fp8_fp8 v[92:95], a[136:137], v[60:61], v[92:95]// 000000012DB8: D3F3005C 0D727988
	v_mfma_f32_16x16x32_fp8_fp8 v[96:99], a[152:153], v[60:61], v[96:99]// 000000012DC0: D3F30060 0D827998
	v_mfma_f32_16x16x32_fp8_fp8 v[92:95], a[138:139], v[62:63], v[92:95]// 000000012DC8: D3F3005C 0D727D8A
	v_mfma_f32_16x16x32_fp8_fp8 v[96:99], a[154:155], v[62:63], v[96:99]// 000000012DD0: D3F30060 0D827D9A
	s_waitcnt lgkmcnt(0)                                       // 000000012DD8: BF8CC07F
	v_mfma_f32_16x16x32_fp8_fp8 v[92:95], a[140:141], v[64:65], v[92:95]// 000000012DDC: D3F3005C 0D72818C
	v_mfma_f32_16x16x32_fp8_fp8 v[96:99], a[156:157], v[64:65], v[96:99]// 000000012DE4: D3F30060 0D82819C
	v_mfma_f32_16x16x32_fp8_fp8 v[92:95], a[142:143], v[66:67], v[92:95]// 000000012DEC: D3F3005C 0D72858E
	v_mfma_f32_16x16x32_fp8_fp8 v[96:99], a[158:159], v[66:67], v[96:99]// 000000012DF4: D3F30060 0D82859E
	s_addk_i32 s64, 0x100                                      // 000000012DFC: B7400100

0000000000012e00 <label_4200>:
	s_cmp_lt_i32 s64, s62                                      // 000000012E00: BF043E40
	s_cbranch_scc0 label_5418                                  // 000000012E04: BF841216
	s_waitcnt vmcnt(10)                                        // 000000012E08: BF8C0F7A
	v_mfma_f32_16x16x32_fp8_fp8 v[4:7], a[32:33], a[0:1], 0    // 000000012E0C: D3F30004 1A020120
	s_add_u32 s12, s86, s69                                    // 000000012E14: 800C4556
	s_addc_u32 s13, s87, 0                                     // 000000012E18: 820D8057
	v_mfma_f32_16x16x32_fp8_fp8 v[4:7], a[34:35], a[2:3], v[4:7]// 000000012E1C: D3F30004 1C120522
	s_add_u32 s16, s88, s70                                    // 000000012E24: 80104658
	s_addc_u32 s17, s89, 0                                     // 000000012E28: 82118059
	v_mfma_f32_16x16x32_fp8_fp8 v[4:7], a[36:37], a[4:5], v[4:7]// 000000012E2C: D3F30004 1C120924
	buffer_load_dwordx4 a[64:67], v225, s[12:15], 0 offen      // 000000012E34: E05C1000 808340E1
	v_mfma_f32_16x16x32_fp8_fp8 v[4:7], a[38:39], a[6:7], v[4:7]// 000000012E3C: D3F30004 1C120D26
	s_add_u32 s20, s90, s71                                    // 000000012E44: 8014475A
	s_addc_u32 s21, s91, 0                                     // 000000012E48: 8215805B
	v_mfma_f32_16x16x32_fp8_fp8 v[8:11], a[40:41], a[0:1], 0   // 000000012E4C: D3F30008 1A020128
	s_add_u32 s24, s92, s71                                    // 000000012E54: 8018475C
	s_addc_u32 s25, s93, 0                                     // 000000012E58: 8219805D
	v_mfma_f32_16x16x32_fp8_fp8 v[8:11], a[42:43], a[2:3], v[8:11]// 000000012E5C: D3F30008 1C22052A
	s_mul_i32 s69, s59, s50                                    // 000000012E64: 9245323B
	s_mul_i32 s71, s59, s66                                    // 000000012E68: 9247423B
	v_mfma_f32_16x16x32_fp8_fp8 v[8:11], a[44:45], a[4:5], v[8:11]// 000000012E6C: D3F30008 1C22092C
	buffer_load_dwordx4 a[68:71], v226, s[12:15], 0 offen      // 000000012E74: E05C1000 808344E2
	v_mfma_f32_16x16x32_fp8_fp8 v[8:11], a[46:47], a[6:7], v[8:11]// 000000012E7C: D3F30008 1C220D2E
	s_mul_i32 s54, s78, s51                                    // 000000012E84: 9236334E
	s_add_u32 s69, s69, s54                                    // 000000012E88: 80453645
	v_mfma_f32_16x16x32_fp8_fp8 v[12:15], a[48:49], a[0:1], 0  // 000000012E8C: D3F3000C 1A020130
	s_mov_b32 s70, s69                                         // 000000012E94: BEC60045
	v_mfma_f32_16x16x32_fp8_fp8 v[12:15], a[50:51], a[2:3], v[12:15]// 000000012E98: D3F3000C 1C320532
	s_mul_i32 s54, s78, 4                                      // 000000012EA0: 9236844E
	s_add_u32 s71, s71, s54                                    // 000000012EA4: 80473647
	v_mfma_f32_16x16x32_fp8_fp8 v[12:15], a[52:53], a[4:5], v[12:15]// 000000012EA8: D3F3000C 1C320934
	buffer_load_dwordx4 a[72:75], v225, s[12:15], 0 offen offset:1024// 000000012EB0: E05C1400 808348E1
	v_mfma_f32_16x16x32_fp8_fp8 v[12:15], a[54:55], a[6:7], v[12:15]// 000000012EB8: D3F3000C 1C320D36
	v_mfma_f32_16x16x32_fp8_fp8 v[16:19], a[56:57], a[0:1], 0  // 000000012EC0: D3F30010 1A020138
	v_mfma_f32_16x16x32_fp8_fp8 v[16:19], a[58:59], a[2:3], v[16:19]// 000000012EC8: D3F30010 1C42053A
	v_mfma_f32_16x16x32_fp8_fp8 v[16:19], a[60:61], a[4:5], v[16:19]// 000000012ED0: D3F30010 1C42093C
	buffer_load_dwordx4 a[76:79], v226, s[12:15], 0 offen offset:1024// 000000012ED8: E05C1400 80834CE2
	v_mfma_f32_16x16x32_fp8_fp8 v[16:19], a[62:63], a[6:7], v[16:19]// 000000012EE0: D3F30010 1C420D3E
	v_mfma_f32_16x16x32_fp8_fp8 v[20:23], a[32:33], a[8:9], 0  // 000000012EE8: D3F30014 1A021120
	v_mfma_f32_16x16x32_fp8_fp8 v[20:23], a[34:35], a[10:11], v[20:23]// 000000012EF0: D3F30014 1C521522
	v_mfma_f32_16x16x32_fp8_fp8 v[20:23], a[36:37], a[12:13], v[20:23]// 000000012EF8: D3F30014 1C521924
	buffer_load_dwordx4 a[80:83], v225, s[12:15], 0 offen offset:2048// 000000012F00: E05C1800 808350E1
	v_mfma_f32_16x16x32_fp8_fp8 v[20:23], a[38:39], a[14:15], v[20:23]// 000000012F08: D3F30014 1C521D26
	v_mfma_f32_16x16x32_fp8_fp8 v[24:27], a[40:41], a[8:9], 0  // 000000012F10: D3F30018 1A021128
	v_mfma_f32_16x16x32_fp8_fp8 v[24:27], a[42:43], a[10:11], v[24:27]// 000000012F18: D3F30018 1C62152A
	v_mfma_f32_16x16x32_fp8_fp8 v[24:27], a[44:45], a[12:13], v[24:27]// 000000012F20: D3F30018 1C62192C
	buffer_load_dwordx4 a[84:87], v226, s[12:15], 0 offen offset:2048// 000000012F28: E05C1800 808354E2
	v_mfma_f32_16x16x32_fp8_fp8 v[24:27], a[46:47], a[14:15], v[24:27]// 000000012F30: D3F30018 1C621D2E
	v_mfma_f32_16x16x32_fp8_fp8 v[28:31], a[48:49], a[8:9], 0  // 000000012F38: D3F3001C 1A021130
	v_mfma_f32_16x16x32_fp8_fp8 v[28:31], a[50:51], a[10:11], v[28:31]// 000000012F40: D3F3001C 1C721532
	v_mfma_f32_16x16x32_fp8_fp8 v[28:31], a[52:53], a[12:13], v[28:31]// 000000012F48: D3F3001C 1C721934
	buffer_load_dwordx4 a[88:91], v225, s[12:15], 0 offen offset:3072// 000000012F50: E05C1C00 808358E1
	v_mfma_f32_16x16x32_fp8_fp8 v[28:31], a[54:55], a[14:15], v[28:31]// 000000012F58: D3F3001C 1C721D36
	v_mfma_f32_16x16x32_fp8_fp8 v[32:35], a[56:57], a[8:9], 0  // 000000012F60: D3F30020 1A021138
	v_mfma_f32_16x16x32_fp8_fp8 v[32:35], a[58:59], a[10:11], v[32:35]// 000000012F68: D3F30020 1C82153A
	v_mfma_f32_16x16x32_fp8_fp8 v[32:35], a[60:61], a[12:13], v[32:35]// 000000012F70: D3F30020 1C82193C
	buffer_load_dwordx4 a[92:95], v226, s[12:15], 0 offen offset:3072// 000000012F78: E05C1C00 80835CE2
	v_mfma_f32_16x16x32_fp8_fp8 v[32:35], a[62:63], a[14:15], v[32:35]// 000000012F80: D3F30020 1C821D3E
	v_mfma_f32_16x16x32_fp8_fp8 v[36:39], a[32:33], a[16:17], 0// 000000012F88: D3F30024 1A022120
	v_mfma_f32_16x16x32_fp8_fp8 v[36:39], a[34:35], a[18:19], v[36:39]// 000000012F90: D3F30024 1C922522
	v_mfma_f32_16x16x32_fp8_fp8 v[36:39], a[36:37], a[20:21], v[36:39]// 000000012F98: D3F30024 1C922924
	v_mfma_f32_16x16x32_fp8_fp8 v[36:39], a[38:39], a[22:23], v[36:39]// 000000012FA0: D3F30024 1C922D26
	v_mfma_f32_16x16x32_fp8_fp8 v[40:43], a[40:41], a[16:17], 0// 000000012FA8: D3F30028 1A022128
	v_mfma_f32_16x16x32_fp8_fp8 v[40:43], a[42:43], a[18:19], v[40:43]// 000000012FB0: D3F30028 1CA2252A
	v_mfma_f32_16x16x32_fp8_fp8 v[40:43], a[44:45], a[20:21], v[40:43]// 000000012FB8: D3F30028 1CA2292C
	v_mfma_f32_16x16x32_fp8_fp8 v[40:43], a[46:47], a[22:23], v[40:43]// 000000012FC0: D3F30028 1CA22D2E
	v_mfma_f32_16x16x32_fp8_fp8 v[44:47], a[48:49], a[16:17], 0// 000000012FC8: D3F3002C 1A022130
	v_mfma_f32_16x16x32_fp8_fp8 v[44:47], a[50:51], a[18:19], v[44:47]// 000000012FD0: D3F3002C 1CB22532
	v_mfma_f32_16x16x32_fp8_fp8 v[44:47], a[52:53], a[20:21], v[44:47]// 000000012FD8: D3F3002C 1CB22934
	v_mfma_f32_16x16x32_fp8_fp8 v[44:47], a[54:55], a[22:23], v[44:47]// 000000012FE0: D3F3002C 1CB22D36
	v_mfma_f32_16x16x32_fp8_fp8 v[48:51], a[56:57], a[16:17], 0// 000000012FE8: D3F30030 1A022138
	v_mfma_f32_16x16x32_fp8_fp8 v[48:51], a[58:59], a[18:19], v[48:51]// 000000012FF0: D3F30030 1CC2253A
	v_mfma_f32_16x16x32_fp8_fp8 v[48:51], a[60:61], a[20:21], v[48:51]// 000000012FF8: D3F30030 1CC2293C
	v_mfma_f32_16x16x32_fp8_fp8 v[48:51], a[62:63], a[22:23], v[48:51]// 000000013000: D3F30030 1CC22D3E
	v_mfma_f32_16x16x32_fp8_fp8 v[52:55], a[32:33], a[24:25], 0// 000000013008: D3F30034 1A023120
	v_mfma_f32_16x16x32_fp8_fp8 v[52:55], a[34:35], a[26:27], v[52:55]// 000000013010: D3F30034 1CD23522
	v_mfma_f32_16x16x32_fp8_fp8 v[52:55], a[36:37], a[28:29], v[52:55]// 000000013018: D3F30034 1CD23924
	v_mfma_f32_16x16x32_fp8_fp8 v[52:55], a[38:39], a[30:31], v[52:55]// 000000013020: D3F30034 1CD23D26
	v_mfma_f32_16x16x32_fp8_fp8 v[56:59], a[40:41], a[24:25], 0// 000000013028: D3F30038 1A023128
	v_mfma_f32_16x16x32_fp8_fp8 v[56:59], a[42:43], a[26:27], v[56:59]// 000000013030: D3F30038 1CE2352A
	v_mfma_f32_16x16x32_fp8_fp8 v[56:59], a[44:45], a[28:29], v[56:59]// 000000013038: D3F30038 1CE2392C
	v_mfma_f32_16x16x32_fp8_fp8 v[56:59], a[46:47], a[30:31], v[56:59]// 000000013040: D3F30038 1CE23D2E
	v_mfma_f32_16x16x32_fp8_fp8 v[60:63], a[48:49], a[24:25], 0// 000000013048: D3F3003C 1A023130
	v_mfma_f32_16x16x32_fp8_fp8 v[60:63], a[50:51], a[26:27], v[60:63]// 000000013050: D3F3003C 1CF23532
	v_mfma_f32_16x16x32_fp8_fp8 v[60:63], a[52:53], a[28:29], v[60:63]// 000000013058: D3F3003C 1CF23934
	v_mfma_f32_16x16x32_fp8_fp8 v[60:63], a[54:55], a[30:31], v[60:63]// 000000013060: D3F3003C 1CF23D36
	v_mfma_f32_16x16x32_fp8_fp8 v[64:67], a[56:57], a[24:25], 0// 000000013068: D3F30040 1A023138
	v_mfma_f32_16x16x32_fp8_fp8 v[64:67], a[58:59], a[26:27], v[64:67]// 000000013070: D3F30040 1D02353A
	v_mfma_f32_16x16x32_fp8_fp8 v[64:67], a[60:61], a[28:29], v[64:67]// 000000013078: D3F30040 1D02393C
	v_mfma_f32_16x16x32_fp8_fp8 v[64:67], a[62:63], a[30:31], v[64:67]// 000000013080: D3F30040 1D023D3E
	s_waitcnt vmcnt(16)                                        // 000000013088: BF8C4F70
	v_pk_mul_f32 v[4:5], v[132:133], v[4:5]                    // 00000001308C: D3B14004 18020984
	v_pk_mul_f32 v[6:7], v[132:133], v[6:7]                    // 000000013094: D3B14006 18020D84
	v_mul_f32_dpp v4, v140, v4 row_newbcast:0 row_mask:0xf bank_mask:0xf// 00000001309C: 0A0808FA FF01508C
	v_mul_f32_dpp v5, v140, v5 row_newbcast:1 row_mask:0xf bank_mask:0xf// 0000000130A4: 0A0A0AFA FF01518C
	v_mul_f32_dpp v6, v140, v6 row_newbcast:2 row_mask:0xf bank_mask:0xf// 0000000130AC: 0A0C0CFA FF01528C
	v_mul_f32_dpp v7, v140, v7 row_newbcast:3 row_mask:0xf bank_mask:0xf// 0000000130B4: 0A0E0EFA FF01538C
	v_pk_mul_f32 v[8:9], v[132:133], v[8:9]                    // 0000000130BC: D3B14008 18021184
	v_pk_mul_f32 v[10:11], v[132:133], v[10:11]                // 0000000130C4: D3B1400A 18021584
	v_mul_f32_dpp v8, v140, v8 row_newbcast:4 row_mask:0xf bank_mask:0xf// 0000000130CC: 0A1010FA FF01548C
	v_mul_f32_dpp v9, v140, v9 row_newbcast:5 row_mask:0xf bank_mask:0xf// 0000000130D4: 0A1212FA FF01558C
	v_mul_f32_dpp v10, v140, v10 row_newbcast:6 row_mask:0xf bank_mask:0xf// 0000000130DC: 0A1414FA FF01568C
	v_mul_f32_dpp v11, v140, v11 row_newbcast:7 row_mask:0xf bank_mask:0xf// 0000000130E4: 0A1616FA FF01578C
	v_pk_mul_f32 v[12:13], v[132:133], v[12:13]                // 0000000130EC: D3B1400C 18021984
	v_pk_mul_f32 v[14:15], v[132:133], v[14:15]                // 0000000130F4: D3B1400E 18021D84
	v_mul_f32_dpp v12, v140, v12 row_newbcast:8 row_mask:0xf bank_mask:0xf// 0000000130FC: 0A1818FA FF01588C
	v_mul_f32_dpp v13, v140, v13 row_newbcast:9 row_mask:0xf bank_mask:0xf// 000000013104: 0A1A1AFA FF01598C
	v_mul_f32_dpp v14, v140, v14 row_newbcast:10 row_mask:0xf bank_mask:0xf// 00000001310C: 0A1C1CFA FF015A8C
	v_mul_f32_dpp v15, v140, v15 row_newbcast:11 row_mask:0xf bank_mask:0xf// 000000013114: 0A1E1EFA FF015B8C
	v_pk_mul_f32 v[16:17], v[132:133], v[16:17]                // 00000001311C: D3B14010 18022184
	v_pk_mul_f32 v[18:19], v[132:133], v[18:19]                // 000000013124: D3B14012 18022584
	v_mul_f32_dpp v16, v140, v16 row_newbcast:12 row_mask:0xf bank_mask:0xf// 00000001312C: 0A2020FA FF015C8C
	v_mul_f32_dpp v17, v140, v17 row_newbcast:13 row_mask:0xf bank_mask:0xf// 000000013134: 0A2222FA FF015D8C
	v_mul_f32_dpp v18, v140, v18 row_newbcast:14 row_mask:0xf bank_mask:0xf// 00000001313C: 0A2424FA FF015E8C
	v_mul_f32_dpp v19, v140, v19 row_newbcast:15 row_mask:0xf bank_mask:0xf// 000000013144: 0A2626FA FF015F8C
	v_pk_mul_f32 v[20:21], v[134:135], v[20:21]                // 00000001314C: D3B14014 18022986
	v_pk_mul_f32 v[22:23], v[134:135], v[22:23]                // 000000013154: D3B14016 18022D86
	v_mul_f32_dpp v20, v140, v20 row_newbcast:0 row_mask:0xf bank_mask:0xf// 00000001315C: 0A2828FA FF01508C
	v_mul_f32_dpp v21, v140, v21 row_newbcast:1 row_mask:0xf bank_mask:0xf// 000000013164: 0A2A2AFA FF01518C
	v_mul_f32_dpp v22, v140, v22 row_newbcast:2 row_mask:0xf bank_mask:0xf// 00000001316C: 0A2C2CFA FF01528C
	v_mul_f32_dpp v23, v140, v23 row_newbcast:3 row_mask:0xf bank_mask:0xf// 000000013174: 0A2E2EFA FF01538C
	v_pk_mul_f32 v[24:25], v[134:135], v[24:25]                // 00000001317C: D3B14018 18023186
	v_pk_mul_f32 v[26:27], v[134:135], v[26:27]                // 000000013184: D3B1401A 18023586
	v_mul_f32_dpp v24, v140, v24 row_newbcast:4 row_mask:0xf bank_mask:0xf// 00000001318C: 0A3030FA FF01548C
	v_mul_f32_dpp v25, v140, v25 row_newbcast:5 row_mask:0xf bank_mask:0xf// 000000013194: 0A3232FA FF01558C
	v_mul_f32_dpp v26, v140, v26 row_newbcast:6 row_mask:0xf bank_mask:0xf// 00000001319C: 0A3434FA FF01568C
	v_mul_f32_dpp v27, v140, v27 row_newbcast:7 row_mask:0xf bank_mask:0xf// 0000000131A4: 0A3636FA FF01578C
	v_pk_mul_f32 v[28:29], v[134:135], v[28:29]                // 0000000131AC: D3B1401C 18023986
	v_pk_mul_f32 v[30:31], v[134:135], v[30:31]                // 0000000131B4: D3B1401E 18023D86
	v_mul_f32_dpp v28, v140, v28 row_newbcast:8 row_mask:0xf bank_mask:0xf// 0000000131BC: 0A3838FA FF01588C
	v_mul_f32_dpp v29, v140, v29 row_newbcast:9 row_mask:0xf bank_mask:0xf// 0000000131C4: 0A3A3AFA FF01598C
	v_mul_f32_dpp v30, v140, v30 row_newbcast:10 row_mask:0xf bank_mask:0xf// 0000000131CC: 0A3C3CFA FF015A8C
	v_mul_f32_dpp v31, v140, v31 row_newbcast:11 row_mask:0xf bank_mask:0xf// 0000000131D4: 0A3E3EFA FF015B8C
	v_pk_mul_f32 v[32:33], v[134:135], v[32:33]                // 0000000131DC: D3B14020 18024186
	v_pk_mul_f32 v[34:35], v[134:135], v[34:35]                // 0000000131E4: D3B14022 18024586
	v_mul_f32_dpp v32, v140, v32 row_newbcast:12 row_mask:0xf bank_mask:0xf// 0000000131EC: 0A4040FA FF015C8C
	v_mul_f32_dpp v33, v140, v33 row_newbcast:13 row_mask:0xf bank_mask:0xf// 0000000131F4: 0A4242FA FF015D8C
	v_mul_f32_dpp v34, v140, v34 row_newbcast:14 row_mask:0xf bank_mask:0xf// 0000000131FC: 0A4444FA FF015E8C
	v_mul_f32_dpp v35, v140, v35 row_newbcast:15 row_mask:0xf bank_mask:0xf// 000000013204: 0A4646FA FF015F8C
	v_pk_mul_f32 v[36:37], v[136:137], v[36:37]                // 00000001320C: D3B14024 18024988
	v_pk_mul_f32 v[38:39], v[136:137], v[38:39]                // 000000013214: D3B14026 18024D88
	v_mul_f32_dpp v36, v140, v36 row_newbcast:0 row_mask:0xf bank_mask:0xf// 00000001321C: 0A4848FA FF01508C
	v_mul_f32_dpp v37, v140, v37 row_newbcast:1 row_mask:0xf bank_mask:0xf// 000000013224: 0A4A4AFA FF01518C
	v_mul_f32_dpp v38, v140, v38 row_newbcast:2 row_mask:0xf bank_mask:0xf// 00000001322C: 0A4C4CFA FF01528C
	v_mul_f32_dpp v39, v140, v39 row_newbcast:3 row_mask:0xf bank_mask:0xf// 000000013234: 0A4E4EFA FF01538C
	v_pk_mul_f32 v[40:41], v[136:137], v[40:41]                // 00000001323C: D3B14028 18025188
	v_pk_mul_f32 v[42:43], v[136:137], v[42:43]                // 000000013244: D3B1402A 18025588
	v_mul_f32_dpp v40, v140, v40 row_newbcast:4 row_mask:0xf bank_mask:0xf// 00000001324C: 0A5050FA FF01548C
	v_mul_f32_dpp v41, v140, v41 row_newbcast:5 row_mask:0xf bank_mask:0xf// 000000013254: 0A5252FA FF01558C
	v_mul_f32_dpp v42, v140, v42 row_newbcast:6 row_mask:0xf bank_mask:0xf// 00000001325C: 0A5454FA FF01568C
	v_mul_f32_dpp v43, v140, v43 row_newbcast:7 row_mask:0xf bank_mask:0xf// 000000013264: 0A5656FA FF01578C
	v_pk_mul_f32 v[44:45], v[136:137], v[44:45]                // 00000001326C: D3B1402C 18025988
	v_pk_mul_f32 v[46:47], v[136:137], v[46:47]                // 000000013274: D3B1402E 18025D88
	v_mul_f32_dpp v44, v140, v44 row_newbcast:8 row_mask:0xf bank_mask:0xf// 00000001327C: 0A5858FA FF01588C
	v_mul_f32_dpp v45, v140, v45 row_newbcast:9 row_mask:0xf bank_mask:0xf// 000000013284: 0A5A5AFA FF01598C
	v_mul_f32_dpp v46, v140, v46 row_newbcast:10 row_mask:0xf bank_mask:0xf// 00000001328C: 0A5C5CFA FF015A8C
	v_mul_f32_dpp v47, v140, v47 row_newbcast:11 row_mask:0xf bank_mask:0xf// 000000013294: 0A5E5EFA FF015B8C
	v_pk_mul_f32 v[48:49], v[136:137], v[48:49]                // 00000001329C: D3B14030 18026188
	v_pk_mul_f32 v[50:51], v[136:137], v[50:51]                // 0000000132A4: D3B14032 18026588
	v_mul_f32_dpp v48, v140, v48 row_newbcast:12 row_mask:0xf bank_mask:0xf// 0000000132AC: 0A6060FA FF015C8C
	v_mul_f32_dpp v49, v140, v49 row_newbcast:13 row_mask:0xf bank_mask:0xf// 0000000132B4: 0A6262FA FF015D8C
	v_mul_f32_dpp v50, v140, v50 row_newbcast:14 row_mask:0xf bank_mask:0xf// 0000000132BC: 0A6464FA FF015E8C
	v_mul_f32_dpp v51, v140, v51 row_newbcast:15 row_mask:0xf bank_mask:0xf// 0000000132C4: 0A6666FA FF015F8C
	v_pk_mul_f32 v[52:53], v[138:139], v[52:53]                // 0000000132CC: D3B14034 1802698A
	v_pk_mul_f32 v[54:55], v[138:139], v[54:55]                // 0000000132D4: D3B14036 18026D8A
	v_mul_f32_dpp v52, v140, v52 row_newbcast:0 row_mask:0xf bank_mask:0xf// 0000000132DC: 0A6868FA FF01508C
	v_mul_f32_dpp v53, v140, v53 row_newbcast:1 row_mask:0xf bank_mask:0xf// 0000000132E4: 0A6A6AFA FF01518C
	v_mul_f32_dpp v54, v140, v54 row_newbcast:2 row_mask:0xf bank_mask:0xf// 0000000132EC: 0A6C6CFA FF01528C
	v_mul_f32_dpp v55, v140, v55 row_newbcast:3 row_mask:0xf bank_mask:0xf// 0000000132F4: 0A6E6EFA FF01538C
	v_pk_mul_f32 v[56:57], v[138:139], v[56:57]                // 0000000132FC: D3B14038 1802718A
	v_pk_mul_f32 v[58:59], v[138:139], v[58:59]                // 000000013304: D3B1403A 1802758A
	v_mul_f32_dpp v56, v140, v56 row_newbcast:4 row_mask:0xf bank_mask:0xf// 00000001330C: 0A7070FA FF01548C
	v_mul_f32_dpp v57, v140, v57 row_newbcast:5 row_mask:0xf bank_mask:0xf// 000000013314: 0A7272FA FF01558C
	v_mul_f32_dpp v58, v140, v58 row_newbcast:6 row_mask:0xf bank_mask:0xf// 00000001331C: 0A7474FA FF01568C
	v_mul_f32_dpp v59, v140, v59 row_newbcast:7 row_mask:0xf bank_mask:0xf// 000000013324: 0A7676FA FF01578C
	v_pk_mul_f32 v[60:61], v[138:139], v[60:61]                // 00000001332C: D3B1403C 1802798A
	v_pk_mul_f32 v[62:63], v[138:139], v[62:63]                // 000000013334: D3B1403E 18027D8A
	v_mul_f32_dpp v60, v140, v60 row_newbcast:8 row_mask:0xf bank_mask:0xf// 00000001333C: 0A7878FA FF01588C
	v_mul_f32_dpp v61, v140, v61 row_newbcast:9 row_mask:0xf bank_mask:0xf// 000000013344: 0A7A7AFA FF01598C
	v_mul_f32_dpp v62, v140, v62 row_newbcast:10 row_mask:0xf bank_mask:0xf// 00000001334C: 0A7C7CFA FF015A8C
	v_mul_f32_dpp v63, v140, v63 row_newbcast:11 row_mask:0xf bank_mask:0xf// 000000013354: 0A7E7EFA FF015B8C
	v_pk_mul_f32 v[64:65], v[138:139], v[64:65]                // 00000001335C: D3B14040 1802818A
	v_pk_mul_f32 v[66:67], v[138:139], v[66:67]                // 000000013364: D3B14042 1802858A
	v_mul_f32_dpp v64, v140, v64 row_newbcast:12 row_mask:0xf bank_mask:0xf// 00000001336C: 0A8080FA FF015C8C
	v_mul_f32_dpp v65, v140, v65 row_newbcast:13 row_mask:0xf bank_mask:0xf// 000000013374: 0A8282FA FF015D8C
	v_mul_f32_dpp v66, v140, v66 row_newbcast:14 row_mask:0xf bank_mask:0xf// 00000001337C: 0A8484FA FF015E8C
	v_mul_f32_dpp v67, v140, v67 row_newbcast:15 row_mask:0xf bank_mask:0xf// 000000013384: 0A8686FA FF015F8C
	v_add_u32_e32 v196, s64, v215                              // 00000001338C: 6989AE40
	v_add_u32_e32 v197, 0, v196                                // 000000013390: 698B8880
	v_cmp_lt_u32_e64 s[98:99], v197, v211                      // 000000013394: D0C90062 0003A7C5
	s_nop 0                                                    // 00000001339C: BF800000
	v_cndmask_b32_e64 v4, v216, v4, s[98:99]                   // 0000000133A0: D1000004 018A09D8
	v_add_u32_e32 v197, 1, v196                                // 0000000133A8: 698B8881
	v_cmp_lt_u32_e64 s[98:99], v197, v211                      // 0000000133AC: D0C90062 0003A7C5
	s_nop 0                                                    // 0000000133B4: BF800000
	v_cndmask_b32_e64 v5, v216, v5, s[98:99]                   // 0000000133B8: D1000005 018A0BD8
	v_add_u32_e32 v197, 2, v196                                // 0000000133C0: 698B8882
	v_cmp_lt_u32_e64 s[98:99], v197, v211                      // 0000000133C4: D0C90062 0003A7C5
	s_nop 0                                                    // 0000000133CC: BF800000
	v_cndmask_b32_e64 v6, v216, v6, s[98:99]                   // 0000000133D0: D1000006 018A0DD8
	v_add_u32_e32 v197, 3, v196                                // 0000000133D8: 698B8883
	v_cmp_lt_u32_e64 s[98:99], v197, v211                      // 0000000133DC: D0C90062 0003A7C5
	s_nop 0                                                    // 0000000133E4: BF800000
	v_cndmask_b32_e64 v7, v216, v7, s[98:99]                   // 0000000133E8: D1000007 018A0FD8
	v_add_u32_e32 v197, 64, v196                               // 0000000133F0: 698B88C0
	v_cmp_lt_u32_e64 s[98:99], v197, v211                      // 0000000133F4: D0C90062 0003A7C5
	s_nop 0                                                    // 0000000133FC: BF800000
	v_cndmask_b32_e64 v8, v216, v8, s[98:99]                   // 000000013400: D1000008 018A11D8
	v_add_u32_e32 v197, 0x41, v196                             // 000000013408: 698B88FF 00000041
	v_cmp_lt_u32_e64 s[98:99], v197, v211                      // 000000013410: D0C90062 0003A7C5
	s_nop 0                                                    // 000000013418: BF800000
	v_cndmask_b32_e64 v9, v216, v9, s[98:99]                   // 00000001341C: D1000009 018A13D8
	v_add_u32_e32 v197, 0x42, v196                             // 000000013424: 698B88FF 00000042
	v_cmp_lt_u32_e64 s[98:99], v197, v211                      // 00000001342C: D0C90062 0003A7C5
	s_nop 0                                                    // 000000013434: BF800000
	v_cndmask_b32_e64 v10, v216, v10, s[98:99]                 // 000000013438: D100000A 018A15D8
	v_add_u32_e32 v197, 0x43, v196                             // 000000013440: 698B88FF 00000043
	v_cmp_lt_u32_e64 s[98:99], v197, v211                      // 000000013448: D0C90062 0003A7C5
	s_nop 0                                                    // 000000013450: BF800000
	v_cndmask_b32_e64 v11, v216, v11, s[98:99]                 // 000000013454: D100000B 018A17D8
	v_add_u32_e32 v197, 0x80, v196                             // 00000001345C: 698B88FF 00000080
	v_cmp_lt_u32_e64 s[98:99], v197, v211                      // 000000013464: D0C90062 0003A7C5
	s_nop 0                                                    // 00000001346C: BF800000
	v_cndmask_b32_e64 v12, v216, v12, s[98:99]                 // 000000013470: D100000C 018A19D8
	v_add_u32_e32 v197, 0x81, v196                             // 000000013478: 698B88FF 00000081
	v_cmp_lt_u32_e64 s[98:99], v197, v211                      // 000000013480: D0C90062 0003A7C5
	s_nop 0                                                    // 000000013488: BF800000
	v_cndmask_b32_e64 v13, v216, v13, s[98:99]                 // 00000001348C: D100000D 018A1BD8
	v_add_u32_e32 v197, 0x82, v196                             // 000000013494: 698B88FF 00000082
	v_cmp_lt_u32_e64 s[98:99], v197, v211                      // 00000001349C: D0C90062 0003A7C5
	s_nop 0                                                    // 0000000134A4: BF800000
	v_cndmask_b32_e64 v14, v216, v14, s[98:99]                 // 0000000134A8: D100000E 018A1DD8
	v_add_u32_e32 v197, 0x83, v196                             // 0000000134B0: 698B88FF 00000083
	v_cmp_lt_u32_e64 s[98:99], v197, v211                      // 0000000134B8: D0C90062 0003A7C5
	s_nop 0                                                    // 0000000134C0: BF800000
	v_cndmask_b32_e64 v15, v216, v15, s[98:99]                 // 0000000134C4: D100000F 018A1FD8
	v_add_u32_e32 v197, 0xc0, v196                             // 0000000134CC: 698B88FF 000000C0
	v_cmp_lt_u32_e64 s[98:99], v197, v211                      // 0000000134D4: D0C90062 0003A7C5
	s_nop 0                                                    // 0000000134DC: BF800000
	v_cndmask_b32_e64 v16, v216, v16, s[98:99]                 // 0000000134E0: D1000010 018A21D8
	v_add_u32_e32 v197, 0xc1, v196                             // 0000000134E8: 698B88FF 000000C1
	v_cmp_lt_u32_e64 s[98:99], v197, v211                      // 0000000134F0: D0C90062 0003A7C5
	s_nop 0                                                    // 0000000134F8: BF800000
	v_cndmask_b32_e64 v17, v216, v17, s[98:99]                 // 0000000134FC: D1000011 018A23D8
	v_add_u32_e32 v197, 0xc2, v196                             // 000000013504: 698B88FF 000000C2
	v_cmp_lt_u32_e64 s[98:99], v197, v211                      // 00000001350C: D0C90062 0003A7C5
	s_nop 0                                                    // 000000013514: BF800000
	v_cndmask_b32_e64 v18, v216, v18, s[98:99]                 // 000000013518: D1000012 018A25D8
	v_add_u32_e32 v197, 0xc3, v196                             // 000000013520: 698B88FF 000000C3
	v_cmp_lt_u32_e64 s[98:99], v197, v211                      // 000000013528: D0C90062 0003A7C5
	s_nop 0                                                    // 000000013530: BF800000
	v_cndmask_b32_e64 v19, v216, v19, s[98:99]                 // 000000013534: D1000013 018A27D8
	v_add_u32_e32 v197, 0, v196                                // 00000001353C: 698B8880
	v_cmp_lt_u32_e64 s[98:99], v197, v212                      // 000000013540: D0C90062 0003A9C5
	s_nop 0                                                    // 000000013548: BF800000
	v_cndmask_b32_e64 v20, v216, v20, s[98:99]                 // 00000001354C: D1000014 018A29D8
	v_add_u32_e32 v197, 1, v196                                // 000000013554: 698B8881
	v_cmp_lt_u32_e64 s[98:99], v197, v212                      // 000000013558: D0C90062 0003A9C5
	s_nop 0                                                    // 000000013560: BF800000
	v_cndmask_b32_e64 v21, v216, v21, s[98:99]                 // 000000013564: D1000015 018A2BD8
	v_add_u32_e32 v197, 2, v196                                // 00000001356C: 698B8882
	v_cmp_lt_u32_e64 s[98:99], v197, v212                      // 000000013570: D0C90062 0003A9C5
	s_nop 0                                                    // 000000013578: BF800000
	v_cndmask_b32_e64 v22, v216, v22, s[98:99]                 // 00000001357C: D1000016 018A2DD8
	v_add_u32_e32 v197, 3, v196                                // 000000013584: 698B8883
	v_cmp_lt_u32_e64 s[98:99], v197, v212                      // 000000013588: D0C90062 0003A9C5
	s_nop 0                                                    // 000000013590: BF800000
	v_cndmask_b32_e64 v23, v216, v23, s[98:99]                 // 000000013594: D1000017 018A2FD8
	v_add_u32_e32 v197, 64, v196                               // 00000001359C: 698B88C0
	v_cmp_lt_u32_e64 s[98:99], v197, v212                      // 0000000135A0: D0C90062 0003A9C5
	s_nop 0                                                    // 0000000135A8: BF800000
	v_cndmask_b32_e64 v24, v216, v24, s[98:99]                 // 0000000135AC: D1000018 018A31D8
	v_add_u32_e32 v197, 0x41, v196                             // 0000000135B4: 698B88FF 00000041
	v_cmp_lt_u32_e64 s[98:99], v197, v212                      // 0000000135BC: D0C90062 0003A9C5
	s_nop 0                                                    // 0000000135C4: BF800000
	v_cndmask_b32_e64 v25, v216, v25, s[98:99]                 // 0000000135C8: D1000019 018A33D8
	v_add_u32_e32 v197, 0x42, v196                             // 0000000135D0: 698B88FF 00000042
	v_cmp_lt_u32_e64 s[98:99], v197, v212                      // 0000000135D8: D0C90062 0003A9C5
	s_nop 0                                                    // 0000000135E0: BF800000
	v_cndmask_b32_e64 v26, v216, v26, s[98:99]                 // 0000000135E4: D100001A 018A35D8
	v_add_u32_e32 v197, 0x43, v196                             // 0000000135EC: 698B88FF 00000043
	v_cmp_lt_u32_e64 s[98:99], v197, v212                      // 0000000135F4: D0C90062 0003A9C5
	s_nop 0                                                    // 0000000135FC: BF800000
	v_cndmask_b32_e64 v27, v216, v27, s[98:99]                 // 000000013600: D100001B 018A37D8
	v_add_u32_e32 v197, 0x80, v196                             // 000000013608: 698B88FF 00000080
	v_cmp_lt_u32_e64 s[98:99], v197, v212                      // 000000013610: D0C90062 0003A9C5
	s_nop 0                                                    // 000000013618: BF800000
	v_cndmask_b32_e64 v28, v216, v28, s[98:99]                 // 00000001361C: D100001C 018A39D8
	v_add_u32_e32 v197, 0x81, v196                             // 000000013624: 698B88FF 00000081
	v_cmp_lt_u32_e64 s[98:99], v197, v212                      // 00000001362C: D0C90062 0003A9C5
	s_nop 0                                                    // 000000013634: BF800000
	v_cndmask_b32_e64 v29, v216, v29, s[98:99]                 // 000000013638: D100001D 018A3BD8
	v_add_u32_e32 v197, 0x82, v196                             // 000000013640: 698B88FF 00000082
	v_cmp_lt_u32_e64 s[98:99], v197, v212                      // 000000013648: D0C90062 0003A9C5
	s_nop 0                                                    // 000000013650: BF800000
	v_cndmask_b32_e64 v30, v216, v30, s[98:99]                 // 000000013654: D100001E 018A3DD8
	v_add_u32_e32 v197, 0x83, v196                             // 00000001365C: 698B88FF 00000083
	v_cmp_lt_u32_e64 s[98:99], v197, v212                      // 000000013664: D0C90062 0003A9C5
	s_nop 0                                                    // 00000001366C: BF800000
	v_cndmask_b32_e64 v31, v216, v31, s[98:99]                 // 000000013670: D100001F 018A3FD8
	v_add_u32_e32 v197, 0xc0, v196                             // 000000013678: 698B88FF 000000C0
	v_cmp_lt_u32_e64 s[98:99], v197, v212                      // 000000013680: D0C90062 0003A9C5
	s_nop 0                                                    // 000000013688: BF800000
	v_cndmask_b32_e64 v32, v216, v32, s[98:99]                 // 00000001368C: D1000020 018A41D8
	v_add_u32_e32 v197, 0xc1, v196                             // 000000013694: 698B88FF 000000C1
	v_cmp_lt_u32_e64 s[98:99], v197, v212                      // 00000001369C: D0C90062 0003A9C5
	s_nop 0                                                    // 0000000136A4: BF800000
	v_cndmask_b32_e64 v33, v216, v33, s[98:99]                 // 0000000136A8: D1000021 018A43D8
	v_add_u32_e32 v197, 0xc2, v196                             // 0000000136B0: 698B88FF 000000C2
	v_cmp_lt_u32_e64 s[98:99], v197, v212                      // 0000000136B8: D0C90062 0003A9C5
	s_nop 0                                                    // 0000000136C0: BF800000
	v_cndmask_b32_e64 v34, v216, v34, s[98:99]                 // 0000000136C4: D1000022 018A45D8
	v_add_u32_e32 v197, 0xc3, v196                             // 0000000136CC: 698B88FF 000000C3
	v_cmp_lt_u32_e64 s[98:99], v197, v212                      // 0000000136D4: D0C90062 0003A9C5
	s_nop 0                                                    // 0000000136DC: BF800000
	v_cndmask_b32_e64 v35, v216, v35, s[98:99]                 // 0000000136E0: D1000023 018A47D8
	v_add_u32_e32 v197, 0, v196                                // 0000000136E8: 698B8880
	v_cmp_lt_u32_e64 s[98:99], v197, v213                      // 0000000136EC: D0C90062 0003ABC5
	s_nop 0                                                    // 0000000136F4: BF800000
	v_cndmask_b32_e64 v36, v216, v36, s[98:99]                 // 0000000136F8: D1000024 018A49D8
	v_add_u32_e32 v197, 1, v196                                // 000000013700: 698B8881
	v_cmp_lt_u32_e64 s[98:99], v197, v213                      // 000000013704: D0C90062 0003ABC5
	s_nop 0                                                    // 00000001370C: BF800000
	v_cndmask_b32_e64 v37, v216, v37, s[98:99]                 // 000000013710: D1000025 018A4BD8
	v_add_u32_e32 v197, 2, v196                                // 000000013718: 698B8882
	v_cmp_lt_u32_e64 s[98:99], v197, v213                      // 00000001371C: D0C90062 0003ABC5
	s_nop 0                                                    // 000000013724: BF800000
	v_cndmask_b32_e64 v38, v216, v38, s[98:99]                 // 000000013728: D1000026 018A4DD8
	v_add_u32_e32 v197, 3, v196                                // 000000013730: 698B8883
	v_cmp_lt_u32_e64 s[98:99], v197, v213                      // 000000013734: D0C90062 0003ABC5
	s_nop 0                                                    // 00000001373C: BF800000
	v_cndmask_b32_e64 v39, v216, v39, s[98:99]                 // 000000013740: D1000027 018A4FD8
	v_add_u32_e32 v197, 64, v196                               // 000000013748: 698B88C0
	v_cmp_lt_u32_e64 s[98:99], v197, v213                      // 00000001374C: D0C90062 0003ABC5
	s_nop 0                                                    // 000000013754: BF800000
	v_cndmask_b32_e64 v40, v216, v40, s[98:99]                 // 000000013758: D1000028 018A51D8
	v_add_u32_e32 v197, 0x41, v196                             // 000000013760: 698B88FF 00000041
	v_cmp_lt_u32_e64 s[98:99], v197, v213                      // 000000013768: D0C90062 0003ABC5
	s_nop 0                                                    // 000000013770: BF800000
	v_cndmask_b32_e64 v41, v216, v41, s[98:99]                 // 000000013774: D1000029 018A53D8
	v_add_u32_e32 v197, 0x42, v196                             // 00000001377C: 698B88FF 00000042
	v_cmp_lt_u32_e64 s[98:99], v197, v213                      // 000000013784: D0C90062 0003ABC5
	s_nop 0                                                    // 00000001378C: BF800000
	v_cndmask_b32_e64 v42, v216, v42, s[98:99]                 // 000000013790: D100002A 018A55D8
	v_add_u32_e32 v197, 0x43, v196                             // 000000013798: 698B88FF 00000043
	v_cmp_lt_u32_e64 s[98:99], v197, v213                      // 0000000137A0: D0C90062 0003ABC5
	s_nop 0                                                    // 0000000137A8: BF800000
	v_cndmask_b32_e64 v43, v216, v43, s[98:99]                 // 0000000137AC: D100002B 018A57D8
	v_add_u32_e32 v197, 0x80, v196                             // 0000000137B4: 698B88FF 00000080
	v_cmp_lt_u32_e64 s[98:99], v197, v213                      // 0000000137BC: D0C90062 0003ABC5
	s_nop 0                                                    // 0000000137C4: BF800000
	v_cndmask_b32_e64 v44, v216, v44, s[98:99]                 // 0000000137C8: D100002C 018A59D8
	v_add_u32_e32 v197, 0x81, v196                             // 0000000137D0: 698B88FF 00000081
	v_cmp_lt_u32_e64 s[98:99], v197, v213                      // 0000000137D8: D0C90062 0003ABC5
	s_nop 0                                                    // 0000000137E0: BF800000
	v_cndmask_b32_e64 v45, v216, v45, s[98:99]                 // 0000000137E4: D100002D 018A5BD8
	v_add_u32_e32 v197, 0x82, v196                             // 0000000137EC: 698B88FF 00000082
	v_cmp_lt_u32_e64 s[98:99], v197, v213                      // 0000000137F4: D0C90062 0003ABC5
	s_nop 0                                                    // 0000000137FC: BF800000
	v_cndmask_b32_e64 v46, v216, v46, s[98:99]                 // 000000013800: D100002E 018A5DD8
	v_add_u32_e32 v197, 0x83, v196                             // 000000013808: 698B88FF 00000083
	v_cmp_lt_u32_e64 s[98:99], v197, v213                      // 000000013810: D0C90062 0003ABC5
	s_nop 0                                                    // 000000013818: BF800000
	v_cndmask_b32_e64 v47, v216, v47, s[98:99]                 // 00000001381C: D100002F 018A5FD8
	v_add_u32_e32 v197, 0xc0, v196                             // 000000013824: 698B88FF 000000C0
	v_cmp_lt_u32_e64 s[98:99], v197, v213                      // 00000001382C: D0C90062 0003ABC5
	s_nop 0                                                    // 000000013834: BF800000
	v_cndmask_b32_e64 v48, v216, v48, s[98:99]                 // 000000013838: D1000030 018A61D8
	v_add_u32_e32 v197, 0xc1, v196                             // 000000013840: 698B88FF 000000C1
	v_cmp_lt_u32_e64 s[98:99], v197, v213                      // 000000013848: D0C90062 0003ABC5
	s_nop 0                                                    // 000000013850: BF800000
	v_cndmask_b32_e64 v49, v216, v49, s[98:99]                 // 000000013854: D1000031 018A63D8
	v_add_u32_e32 v197, 0xc2, v196                             // 00000001385C: 698B88FF 000000C2
	v_cmp_lt_u32_e64 s[98:99], v197, v213                      // 000000013864: D0C90062 0003ABC5
	s_nop 0                                                    // 00000001386C: BF800000
	v_cndmask_b32_e64 v50, v216, v50, s[98:99]                 // 000000013870: D1000032 018A65D8
	v_add_u32_e32 v197, 0xc3, v196                             // 000000013878: 698B88FF 000000C3
	v_cmp_lt_u32_e64 s[98:99], v197, v213                      // 000000013880: D0C90062 0003ABC5
	s_nop 0                                                    // 000000013888: BF800000
	v_cndmask_b32_e64 v51, v216, v51, s[98:99]                 // 00000001388C: D1000033 018A67D8
	v_add_u32_e32 v197, 0, v196                                // 000000013894: 698B8880
	v_cmp_lt_u32_e64 s[98:99], v197, v214                      // 000000013898: D0C90062 0003ADC5
	s_nop 0                                                    // 0000000138A0: BF800000
	v_cndmask_b32_e64 v52, v216, v52, s[98:99]                 // 0000000138A4: D1000034 018A69D8
	v_add_u32_e32 v197, 1, v196                                // 0000000138AC: 698B8881
	v_cmp_lt_u32_e64 s[98:99], v197, v214                      // 0000000138B0: D0C90062 0003ADC5
	s_nop 0                                                    // 0000000138B8: BF800000
	v_cndmask_b32_e64 v53, v216, v53, s[98:99]                 // 0000000138BC: D1000035 018A6BD8
	v_add_u32_e32 v197, 2, v196                                // 0000000138C4: 698B8882
	v_cmp_lt_u32_e64 s[98:99], v197, v214                      // 0000000138C8: D0C90062 0003ADC5
	s_nop 0                                                    // 0000000138D0: BF800000
	v_cndmask_b32_e64 v54, v216, v54, s[98:99]                 // 0000000138D4: D1000036 018A6DD8
	v_add_u32_e32 v197, 3, v196                                // 0000000138DC: 698B8883
	v_cmp_lt_u32_e64 s[98:99], v197, v214                      // 0000000138E0: D0C90062 0003ADC5
	s_nop 0                                                    // 0000000138E8: BF800000
	v_cndmask_b32_e64 v55, v216, v55, s[98:99]                 // 0000000138EC: D1000037 018A6FD8
	v_add_u32_e32 v197, 64, v196                               // 0000000138F4: 698B88C0
	v_cmp_lt_u32_e64 s[98:99], v197, v214                      // 0000000138F8: D0C90062 0003ADC5
	s_nop 0                                                    // 000000013900: BF800000
	v_cndmask_b32_e64 v56, v216, v56, s[98:99]                 // 000000013904: D1000038 018A71D8
	v_add_u32_e32 v197, 0x41, v196                             // 00000001390C: 698B88FF 00000041
	v_cmp_lt_u32_e64 s[98:99], v197, v214                      // 000000013914: D0C90062 0003ADC5
	s_nop 0                                                    // 00000001391C: BF800000
	v_cndmask_b32_e64 v57, v216, v57, s[98:99]                 // 000000013920: D1000039 018A73D8
	v_add_u32_e32 v197, 0x42, v196                             // 000000013928: 698B88FF 00000042
	v_cmp_lt_u32_e64 s[98:99], v197, v214                      // 000000013930: D0C90062 0003ADC5
	s_nop 0                                                    // 000000013938: BF800000
	v_cndmask_b32_e64 v58, v216, v58, s[98:99]                 // 00000001393C: D100003A 018A75D8
	v_add_u32_e32 v197, 0x43, v196                             // 000000013944: 698B88FF 00000043
	v_cmp_lt_u32_e64 s[98:99], v197, v214                      // 00000001394C: D0C90062 0003ADC5
	s_nop 0                                                    // 000000013954: BF800000
	v_cndmask_b32_e64 v59, v216, v59, s[98:99]                 // 000000013958: D100003B 018A77D8
	v_add_u32_e32 v197, 0x80, v196                             // 000000013960: 698B88FF 00000080
	v_cmp_lt_u32_e64 s[98:99], v197, v214                      // 000000013968: D0C90062 0003ADC5
	s_nop 0                                                    // 000000013970: BF800000
	v_cndmask_b32_e64 v60, v216, v60, s[98:99]                 // 000000013974: D100003C 018A79D8
	v_add_u32_e32 v197, 0x81, v196                             // 00000001397C: 698B88FF 00000081
	v_cmp_lt_u32_e64 s[98:99], v197, v214                      // 000000013984: D0C90062 0003ADC5
	s_nop 0                                                    // 00000001398C: BF800000
	v_cndmask_b32_e64 v61, v216, v61, s[98:99]                 // 000000013990: D100003D 018A7BD8
	v_add_u32_e32 v197, 0x82, v196                             // 000000013998: 698B88FF 00000082
	v_cmp_lt_u32_e64 s[98:99], v197, v214                      // 0000000139A0: D0C90062 0003ADC5
	s_nop 0                                                    // 0000000139A8: BF800000
	v_cndmask_b32_e64 v62, v216, v62, s[98:99]                 // 0000000139AC: D100003E 018A7DD8
	v_add_u32_e32 v197, 0x83, v196                             // 0000000139B4: 698B88FF 00000083
	v_cmp_lt_u32_e64 s[98:99], v197, v214                      // 0000000139BC: D0C90062 0003ADC5
	s_nop 0                                                    // 0000000139C4: BF800000
	v_cndmask_b32_e64 v63, v216, v63, s[98:99]                 // 0000000139C8: D100003F 018A7FD8
	v_add_u32_e32 v197, 0xc0, v196                             // 0000000139D0: 698B88FF 000000C0
	v_cmp_lt_u32_e64 s[98:99], v197, v214                      // 0000000139D8: D0C90062 0003ADC5
	s_nop 0                                                    // 0000000139E0: BF800000
	v_cndmask_b32_e64 v64, v216, v64, s[98:99]                 // 0000000139E4: D1000040 018A81D8
	v_add_u32_e32 v197, 0xc1, v196                             // 0000000139EC: 698B88FF 000000C1
	v_cmp_lt_u32_e64 s[98:99], v197, v214                      // 0000000139F4: D0C90062 0003ADC5
	s_nop 0                                                    // 0000000139FC: BF800000
	v_cndmask_b32_e64 v65, v216, v65, s[98:99]                 // 000000013A00: D1000041 018A83D8
	v_add_u32_e32 v197, 0xc2, v196                             // 000000013A08: 698B88FF 000000C2
	v_cmp_lt_u32_e64 s[98:99], v197, v214                      // 000000013A10: D0C90062 0003ADC5
	s_nop 0                                                    // 000000013A18: BF800000
	v_cndmask_b32_e64 v66, v216, v66, s[98:99]                 // 000000013A1C: D1000042 018A85D8
	v_add_u32_e32 v197, 0xc3, v196                             // 000000013A24: 698B88FF 000000C3
	v_cmp_lt_u32_e64 s[98:99], v197, v214                      // 000000013A2C: D0C90062 0003ADC5
	s_nop 0                                                    // 000000013A34: BF800000
	v_cndmask_b32_e64 v67, v216, v67, s[98:99]                 // 000000013A38: D1000043 018A87D8
	v_mov_b32_e32 v176, v4                                     // 000000013A40: 7F600304
	v_max3_f32 v176, v4, v5, v176                              // 000000013A44: D1D300B0 06C20B04
	v_max3_f32 v176, v6, v7, v176                              // 000000013A4C: D1D300B0 06C20F06
	v_max3_f32 v176, v8, v9, v176                              // 000000013A54: D1D300B0 06C21308
	v_max3_f32 v176, v10, v11, v176                            // 000000013A5C: D1D300B0 06C2170A
	v_max3_f32 v176, v12, v13, v176                            // 000000013A64: D1D300B0 06C21B0C
	v_max3_f32 v176, v14, v15, v176                            // 000000013A6C: D1D300B0 06C21F0E
	v_max3_f32 v176, v16, v17, v176                            // 000000013A74: D1D300B0 06C22310
	v_max3_f32 v176, v18, v19, v176                            // 000000013A7C: D1D300B0 06C22712
	v_mov_b32_e32 v177, v20                                    // 000000013A84: 7F620314
	v_max3_f32 v177, v20, v21, v177                            // 000000013A88: D1D300B1 06C62B14
	v_max3_f32 v177, v22, v23, v177                            // 000000013A90: D1D300B1 06C62F16
	v_max3_f32 v177, v24, v25, v177                            // 000000013A98: D1D300B1 06C63318
	v_max3_f32 v177, v26, v27, v177                            // 000000013AA0: D1D300B1 06C6371A
	v_max3_f32 v177, v28, v29, v177                            // 000000013AA8: D1D300B1 06C63B1C
	v_max3_f32 v177, v30, v31, v177                            // 000000013AB0: D1D300B1 06C63F1E
	v_max3_f32 v177, v32, v33, v177                            // 000000013AB8: D1D300B1 06C64320
	v_max3_f32 v177, v34, v35, v177                            // 000000013AC0: D1D300B1 06C64722
	v_mov_b32_e32 v178, v36                                    // 000000013AC8: 7F640324
	v_max3_f32 v178, v36, v37, v178                            // 000000013ACC: D1D300B2 06CA4B24
	v_max3_f32 v178, v38, v39, v178                            // 000000013AD4: D1D300B2 06CA4F26
	v_max3_f32 v178, v40, v41, v178                            // 000000013ADC: D1D300B2 06CA5328
	v_max3_f32 v178, v42, v43, v178                            // 000000013AE4: D1D300B2 06CA572A
	v_max3_f32 v178, v44, v45, v178                            // 000000013AEC: D1D300B2 06CA5B2C
	v_max3_f32 v178, v46, v47, v178                            // 000000013AF4: D1D300B2 06CA5F2E
	v_max3_f32 v178, v48, v49, v178                            // 000000013AFC: D1D300B2 06CA6330
	v_max3_f32 v178, v50, v51, v178                            // 000000013B04: D1D300B2 06CA6732
	v_mov_b32_e32 v179, v52                                    // 000000013B0C: 7F660334
	v_max3_f32 v179, v52, v53, v179                            // 000000013B10: D1D300B3 06CE6B34
	v_max3_f32 v179, v54, v55, v179                            // 000000013B18: D1D300B3 06CE6F36
	v_max3_f32 v179, v56, v57, v179                            // 000000013B20: D1D300B3 06CE7338
	v_max3_f32 v179, v58, v59, v179                            // 000000013B28: D1D300B3 06CE773A
	v_max3_f32 v179, v60, v61, v179                            // 000000013B30: D1D300B3 06CE7B3C
	v_max3_f32 v179, v62, v63, v179                            // 000000013B38: D1D300B3 06CE7F3E
	v_max3_f32 v179, v64, v65, v179                            // 000000013B40: D1D300B3 06CE8340
	v_max3_f32 v179, v66, v67, v179                            // 000000013B48: D1D300B3 06CE8742
	ds_bpermute_b32 v180, v200, v176                           // 000000013B50: D87E0000 B400B0C8
	ds_bpermute_b32 v181, v201, v176                           // 000000013B58: D87E0000 B500B0C9
	ds_bpermute_b32 v182, v202, v176                           // 000000013B60: D87E0000 B600B0CA
	ds_bpermute_b32 v183, v200, v177                           // 000000013B68: D87E0000 B700B1C8
	ds_bpermute_b32 v184, v201, v177                           // 000000013B70: D87E0000 B800B1C9
	ds_bpermute_b32 v185, v202, v177                           // 000000013B78: D87E0000 B900B1CA
	ds_bpermute_b32 v186, v200, v178                           // 000000013B80: D87E0000 BA00B2C8
	ds_bpermute_b32 v187, v201, v178                           // 000000013B88: D87E0000 BB00B2C9
	ds_bpermute_b32 v188, v202, v178                           // 000000013B90: D87E0000 BC00B2CA
	ds_bpermute_b32 v189, v200, v179                           // 000000013B98: D87E0000 BD00B3C8
	ds_bpermute_b32 v190, v201, v179                           // 000000013BA0: D87E0000 BE00B3C9
	ds_bpermute_b32 v191, v202, v179                           // 000000013BA8: D87E0000 BF00B3CA
	v_pk_mul_f32 v[100:101], v[160:161], v[100:101]            // 000000013BB0: D3B14064 1802C9A0
	v_pk_mul_f32 v[102:103], v[160:161], v[102:103]            // 000000013BB8: D3B14066 1802CDA0
	v_pk_mul_f32 v[104:105], v[160:161], v[104:105]            // 000000013BC0: D3B14068 1802D1A0
	v_pk_mul_f32 v[106:107], v[160:161], v[106:107]            // 000000013BC8: D3B1406A 1802D5A0
	v_pk_mul_f32 v[108:109], v[162:163], v[108:109]            // 000000013BD0: D3B1406C 1802D9A2
	v_pk_mul_f32 v[110:111], v[162:163], v[110:111]            // 000000013BD8: D3B1406E 1802DDA2
	v_pk_mul_f32 v[112:113], v[162:163], v[112:113]            // 000000013BE0: D3B14070 1802E1A2
	v_pk_mul_f32 v[114:115], v[162:163], v[114:115]            // 000000013BE8: D3B14072 1802E5A2
	v_pk_mul_f32 v[116:117], v[164:165], v[116:117]            // 000000013BF0: D3B14074 1802E9A4
	v_pk_mul_f32 v[118:119], v[164:165], v[118:119]            // 000000013BF8: D3B14076 1802EDA4
	v_pk_mul_f32 v[120:121], v[164:165], v[120:121]            // 000000013C00: D3B14078 1802F1A4
	v_pk_mul_f32 v[122:123], v[164:165], v[122:123]            // 000000013C08: D3B1407A 1802F5A4
	v_pk_mul_f32 v[124:125], v[166:167], v[124:125]            // 000000013C10: D3B1407C 1802F9A6
	v_pk_mul_f32 v[126:127], v[166:167], v[126:127]            // 000000013C18: D3B1407E 1802FDA6
	v_pk_mul_f32 v[128:129], v[166:167], v[128:129]            // 000000013C20: D3B14080 180301A6
	v_pk_mul_f32 v[130:131], v[166:167], v[130:131]            // 000000013C28: D3B14082 180305A6
	s_waitcnt lgkmcnt(9)                                       // 000000013C30: BF8CC97F
	v_max3_f32 v176, v180, v181, v176                          // 000000013C34: D1D300B0 06C36BB4
	v_max_f32_e32 v176, v182, v176                             // 000000013C3C: 176161B6
	s_waitcnt lgkmcnt(6)                                       // 000000013C40: BF8CC67F
	v_max3_f32 v177, v183, v184, v177                          // 000000013C44: D1D300B1 06C771B7
	v_max_f32_e32 v177, v185, v177                             // 000000013C4C: 176363B9
	s_waitcnt lgkmcnt(3)                                       // 000000013C50: BF8CC37F
	v_max3_f32 v178, v186, v187, v178                          // 000000013C54: D1D300B2 06CB77BA
	v_max_f32_e32 v178, v188, v178                             // 000000013C5C: 176565BC
	s_waitcnt lgkmcnt(0)                                       // 000000013C60: BF8CC07F
	v_max3_f32 v179, v189, v190, v179                          // 000000013C64: D1D300B3 06CF7DBD
	v_max_f32_e32 v179, v191, v179                             // 000000013C6C: 176767BF
	ds_write_b128 v247, v[176:179]                             // 000000013C70: D9BE0000 0000B0F7
	s_waitcnt lgkmcnt(0)                                       // 000000013C78: BF8CC07F
	s_barrier                                                  // 000000013C7C: BF8A0000
	ds_read_b128 v[180:183], v248                              // 000000013C80: D9FE0000 B40000F8
	ds_read_b128 v[184:187], v248 offset:256                   // 000000013C88: D9FE0100 B80000F8
	ds_read_b128 v[188:191], v248 offset:512                   // 000000013C90: D9FE0200 BC0000F8
	ds_read_b128 v[192:195], v248 offset:768                   // 000000013C98: D9FE0300 C00000F8
	v_pk_mul_f32 v[68:69], v[144:145], v[68:69]                // 000000013CA0: D3B14044 18028990
	v_pk_mul_f32 v[70:71], v[144:145], v[70:71]                // 000000013CA8: D3B14046 18028D90
	v_pk_mul_f32 v[72:73], v[144:145], v[72:73]                // 000000013CB0: D3B14048 18029190
	v_pk_mul_f32 v[74:75], v[144:145], v[74:75]                // 000000013CB8: D3B1404A 18029590
	v_pk_mul_f32 v[76:77], v[146:147], v[76:77]                // 000000013CC0: D3B1404C 18029992
	v_pk_mul_f32 v[78:79], v[146:147], v[78:79]                // 000000013CC8: D3B1404E 18029D92
	v_pk_mul_f32 v[80:81], v[146:147], v[80:81]                // 000000013CD0: D3B14050 1802A192
	v_pk_mul_f32 v[82:83], v[146:147], v[82:83]                // 000000013CD8: D3B14052 1802A592
	v_pk_mul_f32 v[84:85], v[148:149], v[84:85]                // 000000013CE0: D3B14054 1802A994
	v_pk_mul_f32 v[86:87], v[148:149], v[86:87]                // 000000013CE8: D3B14056 1802AD94
	v_pk_mul_f32 v[88:89], v[148:149], v[88:89]                // 000000013CF0: D3B14058 1802B194
	v_pk_mul_f32 v[90:91], v[148:149], v[90:91]                // 000000013CF8: D3B1405A 1802B594
	v_pk_mul_f32 v[92:93], v[150:151], v[92:93]                // 000000013D00: D3B1405C 1802B996
	v_pk_mul_f32 v[94:95], v[150:151], v[94:95]                // 000000013D08: D3B1405E 1802BD96
	v_pk_mul_f32 v[96:97], v[150:151], v[96:97]                // 000000013D10: D3B14060 1802C196
	v_pk_mul_f32 v[98:99], v[150:151], v[98:99]                // 000000013D18: D3B14062 1802C596
	s_waitcnt lgkmcnt(0)                                       // 000000013D20: BF8CC07F
	v_max3_f32 v176, v180, v184, v176                          // 000000013D24: D1D300B0 06C371B4
	v_max3_f32 v177, v181, v185, v177                          // 000000013D2C: D1D300B1 06C773B5
	v_max3_f32 v178, v182, v186, v178                          // 000000013D34: D1D300B2 06CB75B6
	v_max3_f32 v179, v183, v187, v179                          // 000000013D3C: D1D300B3 06CF77B7
	v_max3_f32 v176, v188, v192, v176                          // 000000013D44: D1D300B0 06C381BC
	v_max3_f32 v177, v189, v193, v177                          // 000000013D4C: D1D300B1 06C783BD
	v_max3_f32 v178, v190, v194, v178                          // 000000013D54: D1D300B2 06CB85BE
	v_max3_f32 v179, v191, v195, v179                          // 000000013D5C: D1D300B3 06CF87BF
	v_max_f32_e32 v156, v176, v152                             // 000000013D64: 173931B0
	v_mul_f32_e64 v196, -s46, v156                             // 000000013D68: D10500C4 2003382E
	v_mov_b32_e32 v197, v196                                   // 000000013D70: 7F8A03C4
	v_pk_fma_f32 v[4:5], v[4:5], s[46:47], v[196:197]          // 000000013D74: D3B04004 1F105D04
	v_pk_fma_f32 v[6:7], v[6:7], s[46:47], v[196:197]          // 000000013D7C: D3B04006 1F105D06
	v_exp_f32_e32 v4, v4                                       // 000000013D84: 7E084104
	v_exp_f32_e32 v5, v5                                       // 000000013D88: 7E0A4105
	v_exp_f32_e32 v6, v6                                       // 000000013D8C: 7E0C4106
	v_exp_f32_e32 v7, v7                                       // 000000013D90: 7E0E4107
	v_pk_fma_f32 v[8:9], v[8:9], s[46:47], v[196:197]          // 000000013D94: D3B04008 1F105D08
	v_pk_fma_f32 v[10:11], v[10:11], s[46:47], v[196:197]      // 000000013D9C: D3B0400A 1F105D0A
	v_exp_f32_e32 v8, v8                                       // 000000013DA4: 7E104108
	v_exp_f32_e32 v9, v9                                       // 000000013DA8: 7E124109
	v_exp_f32_e32 v10, v10                                     // 000000013DAC: 7E14410A
	v_exp_f32_e32 v11, v11                                     // 000000013DB0: 7E16410B
	v_pk_fma_f32 v[12:13], v[12:13], s[46:47], v[196:197]      // 000000013DB4: D3B0400C 1F105D0C
	v_pk_fma_f32 v[14:15], v[14:15], s[46:47], v[196:197]      // 000000013DBC: D3B0400E 1F105D0E
	v_exp_f32_e32 v12, v12                                     // 000000013DC4: 7E18410C
	v_exp_f32_e32 v13, v13                                     // 000000013DC8: 7E1A410D
	v_exp_f32_e32 v14, v14                                     // 000000013DCC: 7E1C410E
	v_exp_f32_e32 v15, v15                                     // 000000013DD0: 7E1E410F
	v_pk_fma_f32 v[16:17], v[16:17], s[46:47], v[196:197]      // 000000013DD4: D3B04010 1F105D10
	v_pk_fma_f32 v[18:19], v[18:19], s[46:47], v[196:197]      // 000000013DDC: D3B04012 1F105D12
	v_exp_f32_e32 v16, v16                                     // 000000013DE4: 7E204110
	v_exp_f32_e32 v17, v17                                     // 000000013DE8: 7E224111
	v_exp_f32_e32 v18, v18                                     // 000000013DEC: 7E244112
	v_exp_f32_e32 v19, v19                                     // 000000013DF0: 7E264113
	v_max_f32_e32 v157, v177, v153                             // 000000013DF4: 173B33B1
	v_mul_f32_e64 v196, -s46, v157                             // 000000013DF8: D10500C4 20033A2E
	v_mov_b32_e32 v197, v196                                   // 000000013E00: 7F8A03C4
	v_pk_fma_f32 v[20:21], v[20:21], s[46:47], v[196:197]      // 000000013E04: D3B04014 1F105D14
	v_pk_fma_f32 v[22:23], v[22:23], s[46:47], v[196:197]      // 000000013E0C: D3B04016 1F105D16
	v_exp_f32_e32 v20, v20                                     // 000000013E14: 7E284114
	v_exp_f32_e32 v21, v21                                     // 000000013E18: 7E2A4115
	v_exp_f32_e32 v22, v22                                     // 000000013E1C: 7E2C4116
	v_exp_f32_e32 v23, v23                                     // 000000013E20: 7E2E4117
	v_pk_fma_f32 v[24:25], v[24:25], s[46:47], v[196:197]      // 000000013E24: D3B04018 1F105D18
	v_pk_fma_f32 v[26:27], v[26:27], s[46:47], v[196:197]      // 000000013E2C: D3B0401A 1F105D1A
	v_exp_f32_e32 v24, v24                                     // 000000013E34: 7E304118
	v_exp_f32_e32 v25, v25                                     // 000000013E38: 7E324119
	v_exp_f32_e32 v26, v26                                     // 000000013E3C: 7E34411A
	v_exp_f32_e32 v27, v27                                     // 000000013E40: 7E36411B
	v_pk_fma_f32 v[28:29], v[28:29], s[46:47], v[196:197]      // 000000013E44: D3B0401C 1F105D1C
	v_pk_fma_f32 v[30:31], v[30:31], s[46:47], v[196:197]      // 000000013E4C: D3B0401E 1F105D1E
	v_exp_f32_e32 v28, v28                                     // 000000013E54: 7E38411C
	v_exp_f32_e32 v29, v29                                     // 000000013E58: 7E3A411D
	v_exp_f32_e32 v30, v30                                     // 000000013E5C: 7E3C411E
	v_exp_f32_e32 v31, v31                                     // 000000013E60: 7E3E411F
	v_pk_fma_f32 v[32:33], v[32:33], s[46:47], v[196:197]      // 000000013E64: D3B04020 1F105D20
	v_pk_fma_f32 v[34:35], v[34:35], s[46:47], v[196:197]      // 000000013E6C: D3B04022 1F105D22
	v_exp_f32_e32 v32, v32                                     // 000000013E74: 7E404120
	v_exp_f32_e32 v33, v33                                     // 000000013E78: 7E424121
	v_exp_f32_e32 v34, v34                                     // 000000013E7C: 7E444122
	v_exp_f32_e32 v35, v35                                     // 000000013E80: 7E464123
	v_max_f32_e32 v158, v178, v154                             // 000000013E84: 173D35B2
	v_mul_f32_e64 v196, -s46, v158                             // 000000013E88: D10500C4 20033C2E
	v_mov_b32_e32 v197, v196                                   // 000000013E90: 7F8A03C4
	v_pk_fma_f32 v[36:37], v[36:37], s[46:47], v[196:197]      // 000000013E94: D3B04024 1F105D24
	v_pk_fma_f32 v[38:39], v[38:39], s[46:47], v[196:197]      // 000000013E9C: D3B04026 1F105D26
	v_exp_f32_e32 v36, v36                                     // 000000013EA4: 7E484124
	v_exp_f32_e32 v37, v37                                     // 000000013EA8: 7E4A4125
	v_exp_f32_e32 v38, v38                                     // 000000013EAC: 7E4C4126
	v_exp_f32_e32 v39, v39                                     // 000000013EB0: 7E4E4127
	v_pk_fma_f32 v[40:41], v[40:41], s[46:47], v[196:197]      // 000000013EB4: D3B04028 1F105D28
	v_pk_fma_f32 v[42:43], v[42:43], s[46:47], v[196:197]      // 000000013EBC: D3B0402A 1F105D2A
	v_exp_f32_e32 v40, v40                                     // 000000013EC4: 7E504128
	v_exp_f32_e32 v41, v41                                     // 000000013EC8: 7E524129
	v_exp_f32_e32 v42, v42                                     // 000000013ECC: 7E54412A
	v_exp_f32_e32 v43, v43                                     // 000000013ED0: 7E56412B
	v_pk_fma_f32 v[44:45], v[44:45], s[46:47], v[196:197]      // 000000013ED4: D3B0402C 1F105D2C
	v_pk_fma_f32 v[46:47], v[46:47], s[46:47], v[196:197]      // 000000013EDC: D3B0402E 1F105D2E
	v_exp_f32_e32 v44, v44                                     // 000000013EE4: 7E58412C
	v_exp_f32_e32 v45, v45                                     // 000000013EE8: 7E5A412D
	v_exp_f32_e32 v46, v46                                     // 000000013EEC: 7E5C412E
	v_exp_f32_e32 v47, v47                                     // 000000013EF0: 7E5E412F
	v_pk_fma_f32 v[48:49], v[48:49], s[46:47], v[196:197]      // 000000013EF4: D3B04030 1F105D30
	v_pk_fma_f32 v[50:51], v[50:51], s[46:47], v[196:197]      // 000000013EFC: D3B04032 1F105D32
	v_exp_f32_e32 v48, v48                                     // 000000013F04: 7E604130
	v_exp_f32_e32 v49, v49                                     // 000000013F08: 7E624131
	v_exp_f32_e32 v50, v50                                     // 000000013F0C: 7E644132
	v_exp_f32_e32 v51, v51                                     // 000000013F10: 7E664133
	v_max_f32_e32 v159, v179, v155                             // 000000013F14: 173F37B3
	v_mul_f32_e64 v196, -s46, v159                             // 000000013F18: D10500C4 20033E2E
	v_mov_b32_e32 v197, v196                                   // 000000013F20: 7F8A03C4
	v_pk_fma_f32 v[52:53], v[52:53], s[46:47], v[196:197]      // 000000013F24: D3B04034 1F105D34
	v_pk_fma_f32 v[54:55], v[54:55], s[46:47], v[196:197]      // 000000013F2C: D3B04036 1F105D36
	v_exp_f32_e32 v52, v52                                     // 000000013F34: 7E684134
	v_exp_f32_e32 v53, v53                                     // 000000013F38: 7E6A4135
	v_exp_f32_e32 v54, v54                                     // 000000013F3C: 7E6C4136
	v_exp_f32_e32 v55, v55                                     // 000000013F40: 7E6E4137
	v_pk_fma_f32 v[56:57], v[56:57], s[46:47], v[196:197]      // 000000013F44: D3B04038 1F105D38
	v_pk_fma_f32 v[58:59], v[58:59], s[46:47], v[196:197]      // 000000013F4C: D3B0403A 1F105D3A
	v_exp_f32_e32 v56, v56                                     // 000000013F54: 7E704138
	v_exp_f32_e32 v57, v57                                     // 000000013F58: 7E724139
	v_exp_f32_e32 v58, v58                                     // 000000013F5C: 7E74413A
	v_exp_f32_e32 v59, v59                                     // 000000013F60: 7E76413B
	v_pk_fma_f32 v[60:61], v[60:61], s[46:47], v[196:197]      // 000000013F64: D3B0403C 1F105D3C
	v_pk_fma_f32 v[62:63], v[62:63], s[46:47], v[196:197]      // 000000013F6C: D3B0403E 1F105D3E
	v_exp_f32_e32 v60, v60                                     // 000000013F74: 7E78413C
	v_exp_f32_e32 v61, v61                                     // 000000013F78: 7E7A413D
	v_exp_f32_e32 v62, v62                                     // 000000013F7C: 7E7C413E
	v_exp_f32_e32 v63, v63                                     // 000000013F80: 7E7E413F
	v_pk_fma_f32 v[64:65], v[64:65], s[46:47], v[196:197]      // 000000013F84: D3B04040 1F105D40
	v_pk_fma_f32 v[66:67], v[66:67], s[46:47], v[196:197]      // 000000013F8C: D3B04042 1F105D42
	v_exp_f32_e32 v64, v64                                     // 000000013F94: 7E804140
	v_exp_f32_e32 v65, v65                                     // 000000013F98: 7E824141
	v_exp_f32_e32 v66, v66                                     // 000000013F9C: 7E844142
	v_exp_f32_e32 v67, v67                                     // 000000013FA0: 7E864143
	v_sub_f32_e32 v160, v152, v156                             // 000000013FA4: 05413998
	v_cmp_eq_u32_e64 s[98:99], v216, v152                      // 000000013FA8: D0CA0062 000331D8
	v_cndmask_b32_e64 v160, v160, 0, s[98:99]                  // 000000013FB0: D10000A0 018901A0
	v_mov_b32_e32 v152, v156                                   // 000000013FB8: 7F30039C
	v_mul_f32_e32 v160, s46, v160                              // 000000013FBC: 0B41402E
	v_exp_f32_e32 v160, v160                                   // 000000013FC0: 7F4041A0
	v_sub_f32_e32 v162, v153, v157                             // 000000013FC4: 05453B99
	v_cmp_eq_u32_e64 s[98:99], v216, v153                      // 000000013FC8: D0CA0062 000333D8
	v_cndmask_b32_e64 v162, v162, 0, s[98:99]                  // 000000013FD0: D10000A2 018901A2
	v_mov_b32_e32 v153, v157                                   // 000000013FD8: 7F32039D
	v_mul_f32_e32 v162, s46, v162                              // 000000013FDC: 0B45442E
	v_exp_f32_e32 v162, v162                                   // 000000013FE0: 7F4441A2
	v_sub_f32_e32 v164, v154, v158                             // 000000013FE4: 05493D9A
	v_cmp_eq_u32_e64 s[98:99], v216, v154                      // 000000013FE8: D0CA0062 000335D8
	v_cndmask_b32_e64 v164, v164, 0, s[98:99]                  // 000000013FF0: D10000A4 018901A4
	v_mov_b32_e32 v154, v158                                   // 000000013FF8: 7F34039E
	v_mul_f32_e32 v164, s46, v164                              // 000000013FFC: 0B49482E
	v_exp_f32_e32 v164, v164                                   // 000000014000: 7F4841A4
	v_sub_f32_e32 v166, v155, v159                             // 000000014004: 054D3F9B
	v_cmp_eq_u32_e64 s[98:99], v216, v155                      // 000000014008: D0CA0062 000337D8
	v_cndmask_b32_e64 v166, v166, 0, s[98:99]                  // 000000014010: D10000A6 018901A6
	v_mov_b32_e32 v155, v159                                   // 000000014018: 7F36039F
	v_mul_f32_e32 v166, s46, v166                              // 00000001401C: 0B4D4C2E
	v_exp_f32_e32 v166, v166                                   // 000000014020: 7F4C41A6
	v_mov_b32_e32 v161, v160                                   // 000000014024: 7F4203A0
	v_mov_b32_e32 v163, v162                                   // 000000014028: 7F4603A2
	v_mov_b32_e32 v165, v164                                   // 00000001402C: 7F4A03A4
	v_mov_b32_e32 v167, v166                                   // 000000014030: 7F4E03A6
	v_mul_f32_e32 v168, v160, v168                             // 000000014034: 0B5151A0
	v_mov_b32_e32 v169, 0                                      // 000000014038: 7F520280
	v_pk_add_f32 v[168:169], v[4:5], v[168:169]                // 00000001403C: D3B240A8 18035104
	v_pk_add_f32 v[168:169], v[6:7], v[168:169]                // 000000014044: D3B240A8 18035106
	v_pk_add_f32 v[168:169], v[8:9], v[168:169]                // 00000001404C: D3B240A8 18035108
	v_pk_add_f32 v[168:169], v[10:11], v[168:169]              // 000000014054: D3B240A8 1803510A
	v_pk_add_f32 v[168:169], v[12:13], v[168:169]              // 00000001405C: D3B240A8 1803510C
	v_pk_add_f32 v[168:169], v[14:15], v[168:169]              // 000000014064: D3B240A8 1803510E
	v_pk_add_f32 v[168:169], v[16:17], v[168:169]              // 00000001406C: D3B240A8 18035110
	v_pk_add_f32 v[168:169], v[18:19], v[168:169]              // 000000014074: D3B240A8 18035112
	v_add_f32_e32 v168, v169, v168                             // 00000001407C: 035151A9
	v_mul_f32_e32 v170, v162, v170                             // 000000014080: 0B5555A2
	v_mov_b32_e32 v171, 0                                      // 000000014084: 7F560280
	v_pk_add_f32 v[170:171], v[20:21], v[170:171]              // 000000014088: D3B240AA 18035514
	v_pk_add_f32 v[170:171], v[22:23], v[170:171]              // 000000014090: D3B240AA 18035516
	;; [unrolled: 1-line block ×3, first 2 shown]
	v_pk_add_f32 v[170:171], v[26:27], v[170:171]              // 0000000140A0: D3B240AA 1803551A
	v_pk_add_f32 v[170:171], v[28:29], v[170:171]              // 0000000140A8: D3B240AA 1803551C
	v_pk_add_f32 v[170:171], v[30:31], v[170:171]              // 0000000140B0: D3B240AA 1803551E
	v_pk_add_f32 v[170:171], v[32:33], v[170:171]              // 0000000140B8: D3B240AA 18035520
	v_pk_add_f32 v[170:171], v[34:35], v[170:171]              // 0000000140C0: D3B240AA 18035522
	v_add_f32_e32 v170, v171, v170                             // 0000000140C8: 035555AB
	v_mul_f32_e32 v172, v164, v172                             // 0000000140CC: 0B5959A4
	v_mov_b32_e32 v173, 0                                      // 0000000140D0: 7F5A0280
	v_pk_add_f32 v[172:173], v[36:37], v[172:173]              // 0000000140D4: D3B240AC 18035924
	v_pk_add_f32 v[172:173], v[38:39], v[172:173]              // 0000000140DC: D3B240AC 18035926
	v_pk_add_f32 v[172:173], v[40:41], v[172:173]              // 0000000140E4: D3B240AC 18035928
	v_pk_add_f32 v[172:173], v[42:43], v[172:173]              // 0000000140EC: D3B240AC 1803592A
	v_pk_add_f32 v[172:173], v[44:45], v[172:173]              // 0000000140F4: D3B240AC 1803592C
	v_pk_add_f32 v[172:173], v[46:47], v[172:173]              // 0000000140FC: D3B240AC 1803592E
	v_pk_add_f32 v[172:173], v[48:49], v[172:173]              // 000000014104: D3B240AC 18035930
	v_pk_add_f32 v[172:173], v[50:51], v[172:173]              // 00000001410C: D3B240AC 18035932
	v_add_f32_e32 v172, v173, v172                             // 000000014114: 035959AD
	v_mul_f32_e32 v174, v166, v174                             // 000000014118: 0B5D5DA6
	v_mov_b32_e32 v175, 0                                      // 00000001411C: 7F5E0280
	v_pk_add_f32 v[174:175], v[52:53], v[174:175]              // 000000014120: D3B240AE 18035D34
	v_pk_add_f32 v[174:175], v[54:55], v[174:175]              // 000000014128: D3B240AE 18035D36
	v_pk_add_f32 v[174:175], v[56:57], v[174:175]              // 000000014130: D3B240AE 18035D38
	v_pk_add_f32 v[174:175], v[58:59], v[174:175]              // 000000014138: D3B240AE 18035D3A
	v_pk_add_f32 v[174:175], v[60:61], v[174:175]              // 000000014140: D3B240AE 18035D3C
	v_pk_add_f32 v[174:175], v[62:63], v[174:175]              // 000000014148: D3B240AE 18035D3E
	v_pk_add_f32 v[174:175], v[64:65], v[174:175]              // 000000014150: D3B240AE 18035D40
	v_pk_add_f32 v[174:175], v[66:67], v[174:175]              // 000000014158: D3B240AE 18035D42
	v_add_f32_e32 v174, v175, v174                             // 000000014160: 035D5DAF
	v_mul_f32_dpp v4, v142, v4 row_newbcast:0 row_mask:0xf bank_mask:0xf// 000000014164: 0A0808FA FF01508E
	v_mul_f32_dpp v5, v142, v5 row_newbcast:1 row_mask:0xf bank_mask:0xf// 00000001416C: 0A0A0AFA FF01518E
	v_mul_f32_dpp v6, v142, v6 row_newbcast:2 row_mask:0xf bank_mask:0xf// 000000014174: 0A0C0CFA FF01528E
	v_mul_f32_dpp v7, v142, v7 row_newbcast:3 row_mask:0xf bank_mask:0xf// 00000001417C: 0A0E0EFA FF01538E
	v_mul_f32_dpp v8, v142, v8 row_newbcast:4 row_mask:0xf bank_mask:0xf// 000000014184: 0A1010FA FF01548E
	v_mul_f32_dpp v9, v142, v9 row_newbcast:5 row_mask:0xf bank_mask:0xf// 00000001418C: 0A1212FA FF01558E
	v_mul_f32_dpp v10, v142, v10 row_newbcast:6 row_mask:0xf bank_mask:0xf// 000000014194: 0A1414FA FF01568E
	v_mul_f32_dpp v11, v142, v11 row_newbcast:7 row_mask:0xf bank_mask:0xf// 00000001419C: 0A1616FA FF01578E
	v_mul_f32_dpp v12, v142, v12 row_newbcast:8 row_mask:0xf bank_mask:0xf// 0000000141A4: 0A1818FA FF01588E
	v_mul_f32_dpp v13, v142, v13 row_newbcast:9 row_mask:0xf bank_mask:0xf// 0000000141AC: 0A1A1AFA FF01598E
	v_mul_f32_dpp v14, v142, v14 row_newbcast:10 row_mask:0xf bank_mask:0xf// 0000000141B4: 0A1C1CFA FF015A8E
	v_mul_f32_dpp v15, v142, v15 row_newbcast:11 row_mask:0xf bank_mask:0xf// 0000000141BC: 0A1E1EFA FF015B8E
	v_mul_f32_dpp v16, v142, v16 row_newbcast:12 row_mask:0xf bank_mask:0xf// 0000000141C4: 0A2020FA FF015C8E
	v_mul_f32_dpp v17, v142, v17 row_newbcast:13 row_mask:0xf bank_mask:0xf// 0000000141CC: 0A2222FA FF015D8E
	v_mul_f32_dpp v18, v142, v18 row_newbcast:14 row_mask:0xf bank_mask:0xf// 0000000141D4: 0A2424FA FF015E8E
	v_mul_f32_dpp v19, v142, v19 row_newbcast:15 row_mask:0xf bank_mask:0xf// 0000000141DC: 0A2626FA FF015F8E
	v_mul_f32_dpp v20, v142, v20 row_newbcast:0 row_mask:0xf bank_mask:0xf// 0000000141E4: 0A2828FA FF01508E
	v_mul_f32_dpp v21, v142, v21 row_newbcast:1 row_mask:0xf bank_mask:0xf// 0000000141EC: 0A2A2AFA FF01518E
	v_mul_f32_dpp v22, v142, v22 row_newbcast:2 row_mask:0xf bank_mask:0xf// 0000000141F4: 0A2C2CFA FF01528E
	v_mul_f32_dpp v23, v142, v23 row_newbcast:3 row_mask:0xf bank_mask:0xf// 0000000141FC: 0A2E2EFA FF01538E
	v_mul_f32_dpp v24, v142, v24 row_newbcast:4 row_mask:0xf bank_mask:0xf// 000000014204: 0A3030FA FF01548E
	v_mul_f32_dpp v25, v142, v25 row_newbcast:5 row_mask:0xf bank_mask:0xf// 00000001420C: 0A3232FA FF01558E
	v_mul_f32_dpp v26, v142, v26 row_newbcast:6 row_mask:0xf bank_mask:0xf// 000000014214: 0A3434FA FF01568E
	v_mul_f32_dpp v27, v142, v27 row_newbcast:7 row_mask:0xf bank_mask:0xf// 00000001421C: 0A3636FA FF01578E
	v_mul_f32_dpp v28, v142, v28 row_newbcast:8 row_mask:0xf bank_mask:0xf// 000000014224: 0A3838FA FF01588E
	v_mul_f32_dpp v29, v142, v29 row_newbcast:9 row_mask:0xf bank_mask:0xf// 00000001422C: 0A3A3AFA FF01598E
	v_mul_f32_dpp v30, v142, v30 row_newbcast:10 row_mask:0xf bank_mask:0xf// 000000014234: 0A3C3CFA FF015A8E
	v_mul_f32_dpp v31, v142, v31 row_newbcast:11 row_mask:0xf bank_mask:0xf// 00000001423C: 0A3E3EFA FF015B8E
	v_mul_f32_dpp v32, v142, v32 row_newbcast:12 row_mask:0xf bank_mask:0xf// 000000014244: 0A4040FA FF015C8E
	v_mul_f32_dpp v33, v142, v33 row_newbcast:13 row_mask:0xf bank_mask:0xf// 00000001424C: 0A4242FA FF015D8E
	v_mul_f32_dpp v34, v142, v34 row_newbcast:14 row_mask:0xf bank_mask:0xf// 000000014254: 0A4444FA FF015E8E
	v_mul_f32_dpp v35, v142, v35 row_newbcast:15 row_mask:0xf bank_mask:0xf// 00000001425C: 0A4646FA FF015F8E
	v_mul_f32_dpp v36, v142, v36 row_newbcast:0 row_mask:0xf bank_mask:0xf// 000000014264: 0A4848FA FF01508E
	v_mul_f32_dpp v37, v142, v37 row_newbcast:1 row_mask:0xf bank_mask:0xf// 00000001426C: 0A4A4AFA FF01518E
	v_mul_f32_dpp v38, v142, v38 row_newbcast:2 row_mask:0xf bank_mask:0xf// 000000014274: 0A4C4CFA FF01528E
	v_mul_f32_dpp v39, v142, v39 row_newbcast:3 row_mask:0xf bank_mask:0xf// 00000001427C: 0A4E4EFA FF01538E
	v_mul_f32_dpp v40, v142, v40 row_newbcast:4 row_mask:0xf bank_mask:0xf// 000000014284: 0A5050FA FF01548E
	v_mul_f32_dpp v41, v142, v41 row_newbcast:5 row_mask:0xf bank_mask:0xf// 00000001428C: 0A5252FA FF01558E
	v_mul_f32_dpp v42, v142, v42 row_newbcast:6 row_mask:0xf bank_mask:0xf// 000000014294: 0A5454FA FF01568E
	v_mul_f32_dpp v43, v142, v43 row_newbcast:7 row_mask:0xf bank_mask:0xf// 00000001429C: 0A5656FA FF01578E
	v_mul_f32_dpp v44, v142, v44 row_newbcast:8 row_mask:0xf bank_mask:0xf// 0000000142A4: 0A5858FA FF01588E
	v_mul_f32_dpp v45, v142, v45 row_newbcast:9 row_mask:0xf bank_mask:0xf// 0000000142AC: 0A5A5AFA FF01598E
	v_mul_f32_dpp v46, v142, v46 row_newbcast:10 row_mask:0xf bank_mask:0xf// 0000000142B4: 0A5C5CFA FF015A8E
	v_mul_f32_dpp v47, v142, v47 row_newbcast:11 row_mask:0xf bank_mask:0xf// 0000000142BC: 0A5E5EFA FF015B8E
	v_mul_f32_dpp v48, v142, v48 row_newbcast:12 row_mask:0xf bank_mask:0xf// 0000000142C4: 0A6060FA FF015C8E
	v_mul_f32_dpp v49, v142, v49 row_newbcast:13 row_mask:0xf bank_mask:0xf// 0000000142CC: 0A6262FA FF015D8E
	v_mul_f32_dpp v50, v142, v50 row_newbcast:14 row_mask:0xf bank_mask:0xf// 0000000142D4: 0A6464FA FF015E8E
	v_mul_f32_dpp v51, v142, v51 row_newbcast:15 row_mask:0xf bank_mask:0xf// 0000000142DC: 0A6666FA FF015F8E
	v_mul_f32_dpp v52, v142, v52 row_newbcast:0 row_mask:0xf bank_mask:0xf// 0000000142E4: 0A6868FA FF01508E
	v_mul_f32_dpp v53, v142, v53 row_newbcast:1 row_mask:0xf bank_mask:0xf// 0000000142EC: 0A6A6AFA FF01518E
	v_mul_f32_dpp v54, v142, v54 row_newbcast:2 row_mask:0xf bank_mask:0xf// 0000000142F4: 0A6C6CFA FF01528E
	v_mul_f32_dpp v55, v142, v55 row_newbcast:3 row_mask:0xf bank_mask:0xf// 0000000142FC: 0A6E6EFA FF01538E
	v_mul_f32_dpp v56, v142, v56 row_newbcast:4 row_mask:0xf bank_mask:0xf// 000000014304: 0A7070FA FF01548E
	v_mul_f32_dpp v57, v142, v57 row_newbcast:5 row_mask:0xf bank_mask:0xf// 00000001430C: 0A7272FA FF01558E
	v_mul_f32_dpp v58, v142, v58 row_newbcast:6 row_mask:0xf bank_mask:0xf// 000000014314: 0A7474FA FF01568E
	v_mul_f32_dpp v59, v142, v59 row_newbcast:7 row_mask:0xf bank_mask:0xf// 00000001431C: 0A7676FA FF01578E
	v_mul_f32_dpp v60, v142, v60 row_newbcast:8 row_mask:0xf bank_mask:0xf// 000000014324: 0A7878FA FF01588E
	v_mul_f32_dpp v61, v142, v61 row_newbcast:9 row_mask:0xf bank_mask:0xf// 00000001432C: 0A7A7AFA FF01598E
	v_mul_f32_dpp v62, v142, v62 row_newbcast:10 row_mask:0xf bank_mask:0xf// 000000014334: 0A7C7CFA FF015A8E
	v_mul_f32_dpp v63, v142, v63 row_newbcast:11 row_mask:0xf bank_mask:0xf// 00000001433C: 0A7E7EFA FF015B8E
	v_mul_f32_dpp v64, v142, v64 row_newbcast:12 row_mask:0xf bank_mask:0xf// 000000014344: 0A8080FA FF015C8E
	v_mul_f32_dpp v65, v142, v65 row_newbcast:13 row_mask:0xf bank_mask:0xf// 00000001434C: 0A8282FA FF015D8E
	v_mul_f32_dpp v66, v142, v66 row_newbcast:14 row_mask:0xf bank_mask:0xf// 000000014354: 0A8484FA FF015E8E
	v_mul_f32_dpp v67, v142, v67 row_newbcast:15 row_mask:0xf bank_mask:0xf// 00000001435C: 0A8686FA FF015F8E
	v_add_u32_e32 v196, s64, v215                              // 000000014364: 6989AE40
	v_add_u32_e32 v197, 0, v196                                // 000000014368: 698B8880
	v_cmp_lt_u32_e32 vcc, v197, v211                           // 00000001436C: 7D93A7C5
	v_cndmask_b32_e32 v4, 0, v4, vcc                           // 000000014370: 00080880
	v_cmp_lt_u32_e32 vcc, v197, v212                           // 000000014374: 7D93A9C5
	v_cndmask_b32_e32 v20, 0, v20, vcc                         // 000000014378: 00282880
	v_cmp_lt_u32_e32 vcc, v197, v213                           // 00000001437C: 7D93ABC5
	v_cndmask_b32_e32 v36, 0, v36, vcc                         // 000000014380: 00484880
	v_cmp_lt_u32_e32 vcc, v197, v214                           // 000000014384: 7D93ADC5
	v_cndmask_b32_e32 v52, 0, v52, vcc                         // 000000014388: 00686880
	v_add_u32_e32 v197, 1, v196                                // 00000001438C: 698B8881
	v_cmp_lt_u32_e32 vcc, v197, v211                           // 000000014390: 7D93A7C5
	v_cndmask_b32_e32 v5, 0, v5, vcc                           // 000000014394: 000A0A80
	v_cmp_lt_u32_e32 vcc, v197, v212                           // 000000014398: 7D93A9C5
	v_cndmask_b32_e32 v21, 0, v21, vcc                         // 00000001439C: 002A2A80
	v_cmp_lt_u32_e32 vcc, v197, v213                           // 0000000143A0: 7D93ABC5
	v_cndmask_b32_e32 v37, 0, v37, vcc                         // 0000000143A4: 004A4A80
	v_cmp_lt_u32_e32 vcc, v197, v214                           // 0000000143A8: 7D93ADC5
	v_cndmask_b32_e32 v53, 0, v53, vcc                         // 0000000143AC: 006A6A80
	v_add_u32_e32 v197, 2, v196                                // 0000000143B0: 698B8882
	v_cmp_lt_u32_e32 vcc, v197, v211                           // 0000000143B4: 7D93A7C5
	v_cndmask_b32_e32 v6, 0, v6, vcc                           // 0000000143B8: 000C0C80
	v_cmp_lt_u32_e32 vcc, v197, v212                           // 0000000143BC: 7D93A9C5
	v_cndmask_b32_e32 v22, 0, v22, vcc                         // 0000000143C0: 002C2C80
	v_cmp_lt_u32_e32 vcc, v197, v213                           // 0000000143C4: 7D93ABC5
	v_cndmask_b32_e32 v38, 0, v38, vcc                         // 0000000143C8: 004C4C80
	v_cmp_lt_u32_e32 vcc, v197, v214                           // 0000000143CC: 7D93ADC5
	v_cndmask_b32_e32 v54, 0, v54, vcc                         // 0000000143D0: 006C6C80
	v_add_u32_e32 v197, 3, v196                                // 0000000143D4: 698B8883
	v_cmp_lt_u32_e32 vcc, v197, v211                           // 0000000143D8: 7D93A7C5
	v_cndmask_b32_e32 v7, 0, v7, vcc                           // 0000000143DC: 000E0E80
	v_cmp_lt_u32_e32 vcc, v197, v212                           // 0000000143E0: 7D93A9C5
	v_cndmask_b32_e32 v23, 0, v23, vcc                         // 0000000143E4: 002E2E80
	v_cmp_lt_u32_e32 vcc, v197, v213                           // 0000000143E8: 7D93ABC5
	v_cndmask_b32_e32 v39, 0, v39, vcc                         // 0000000143EC: 004E4E80
	v_cmp_lt_u32_e32 vcc, v197, v214                           // 0000000143F0: 7D93ADC5
	v_cndmask_b32_e32 v55, 0, v55, vcc                         // 0000000143F4: 006E6E80
	v_add_u32_e32 v197, 64, v196                               // 0000000143F8: 698B88C0
	v_cmp_lt_u32_e32 vcc, v197, v211                           // 0000000143FC: 7D93A7C5
	v_cndmask_b32_e32 v8, 0, v8, vcc                           // 000000014400: 00101080
	v_cmp_lt_u32_e32 vcc, v197, v212                           // 000000014404: 7D93A9C5
	v_cndmask_b32_e32 v24, 0, v24, vcc                         // 000000014408: 00303080
	v_cmp_lt_u32_e32 vcc, v197, v213                           // 00000001440C: 7D93ABC5
	v_cndmask_b32_e32 v40, 0, v40, vcc                         // 000000014410: 00505080
	v_cmp_lt_u32_e32 vcc, v197, v214                           // 000000014414: 7D93ADC5
	v_cndmask_b32_e32 v56, 0, v56, vcc                         // 000000014418: 00707080
	v_add_u32_e32 v197, 0x41, v196                             // 00000001441C: 698B88FF 00000041
	v_cmp_lt_u32_e32 vcc, v197, v211                           // 000000014424: 7D93A7C5
	v_cndmask_b32_e32 v9, 0, v9, vcc                           // 000000014428: 00121280
	v_cmp_lt_u32_e32 vcc, v197, v212                           // 00000001442C: 7D93A9C5
	v_cndmask_b32_e32 v25, 0, v25, vcc                         // 000000014430: 00323280
	v_cmp_lt_u32_e32 vcc, v197, v213                           // 000000014434: 7D93ABC5
	v_cndmask_b32_e32 v41, 0, v41, vcc                         // 000000014438: 00525280
	v_cmp_lt_u32_e32 vcc, v197, v214                           // 00000001443C: 7D93ADC5
	v_cndmask_b32_e32 v57, 0, v57, vcc                         // 000000014440: 00727280
	v_add_u32_e32 v197, 0x42, v196                             // 000000014444: 698B88FF 00000042
	v_cmp_lt_u32_e32 vcc, v197, v211                           // 00000001444C: 7D93A7C5
	v_cndmask_b32_e32 v10, 0, v10, vcc                         // 000000014450: 00141480
	v_cmp_lt_u32_e32 vcc, v197, v212                           // 000000014454: 7D93A9C5
	v_cndmask_b32_e32 v26, 0, v26, vcc                         // 000000014458: 00343480
	v_cmp_lt_u32_e32 vcc, v197, v213                           // 00000001445C: 7D93ABC5
	v_cndmask_b32_e32 v42, 0, v42, vcc                         // 000000014460: 00545480
	v_cmp_lt_u32_e32 vcc, v197, v214                           // 000000014464: 7D93ADC5
	v_cndmask_b32_e32 v58, 0, v58, vcc                         // 000000014468: 00747480
	v_add_u32_e32 v197, 0x43, v196                             // 00000001446C: 698B88FF 00000043
	v_cmp_lt_u32_e32 vcc, v197, v211                           // 000000014474: 7D93A7C5
	v_cndmask_b32_e32 v11, 0, v11, vcc                         // 000000014478: 00161680
	v_cmp_lt_u32_e32 vcc, v197, v212                           // 00000001447C: 7D93A9C5
	v_cndmask_b32_e32 v27, 0, v27, vcc                         // 000000014480: 00363680
	v_cmp_lt_u32_e32 vcc, v197, v213                           // 000000014484: 7D93ABC5
	v_cndmask_b32_e32 v43, 0, v43, vcc                         // 000000014488: 00565680
	v_cmp_lt_u32_e32 vcc, v197, v214                           // 00000001448C: 7D93ADC5
	v_cndmask_b32_e32 v59, 0, v59, vcc                         // 000000014490: 00767680
	v_add_u32_e32 v197, 0x80, v196                             // 000000014494: 698B88FF 00000080
	v_cmp_lt_u32_e32 vcc, v197, v211                           // 00000001449C: 7D93A7C5
	v_cndmask_b32_e32 v12, 0, v12, vcc                         // 0000000144A0: 00181880
	v_cmp_lt_u32_e32 vcc, v197, v212                           // 0000000144A4: 7D93A9C5
	v_cndmask_b32_e32 v28, 0, v28, vcc                         // 0000000144A8: 00383880
	v_cmp_lt_u32_e32 vcc, v197, v213                           // 0000000144AC: 7D93ABC5
	v_cndmask_b32_e32 v44, 0, v44, vcc                         // 0000000144B0: 00585880
	v_cmp_lt_u32_e32 vcc, v197, v214                           // 0000000144B4: 7D93ADC5
	v_cndmask_b32_e32 v60, 0, v60, vcc                         // 0000000144B8: 00787880
	v_add_u32_e32 v197, 0x81, v196                             // 0000000144BC: 698B88FF 00000081
	v_cmp_lt_u32_e32 vcc, v197, v211                           // 0000000144C4: 7D93A7C5
	v_cndmask_b32_e32 v13, 0, v13, vcc                         // 0000000144C8: 001A1A80
	v_cmp_lt_u32_e32 vcc, v197, v212                           // 0000000144CC: 7D93A9C5
	v_cndmask_b32_e32 v29, 0, v29, vcc                         // 0000000144D0: 003A3A80
	v_cmp_lt_u32_e32 vcc, v197, v213                           // 0000000144D4: 7D93ABC5
	v_cndmask_b32_e32 v45, 0, v45, vcc                         // 0000000144D8: 005A5A80
	v_cmp_lt_u32_e32 vcc, v197, v214                           // 0000000144DC: 7D93ADC5
	v_cndmask_b32_e32 v61, 0, v61, vcc                         // 0000000144E0: 007A7A80
	v_add_u32_e32 v197, 0x82, v196                             // 0000000144E4: 698B88FF 00000082
	v_cmp_lt_u32_e32 vcc, v197, v211                           // 0000000144EC: 7D93A7C5
	v_cndmask_b32_e32 v14, 0, v14, vcc                         // 0000000144F0: 001C1C80
	v_cmp_lt_u32_e32 vcc, v197, v212                           // 0000000144F4: 7D93A9C5
	v_cndmask_b32_e32 v30, 0, v30, vcc                         // 0000000144F8: 003C3C80
	v_cmp_lt_u32_e32 vcc, v197, v213                           // 0000000144FC: 7D93ABC5
	v_cndmask_b32_e32 v46, 0, v46, vcc                         // 000000014500: 005C5C80
	v_cmp_lt_u32_e32 vcc, v197, v214                           // 000000014504: 7D93ADC5
	v_cndmask_b32_e32 v62, 0, v62, vcc                         // 000000014508: 007C7C80
	v_add_u32_e32 v197, 0x83, v196                             // 00000001450C: 698B88FF 00000083
	v_cmp_lt_u32_e32 vcc, v197, v211                           // 000000014514: 7D93A7C5
	v_cndmask_b32_e32 v15, 0, v15, vcc                         // 000000014518: 001E1E80
	v_cmp_lt_u32_e32 vcc, v197, v212                           // 00000001451C: 7D93A9C5
	v_cndmask_b32_e32 v31, 0, v31, vcc                         // 000000014520: 003E3E80
	v_cmp_lt_u32_e32 vcc, v197, v213                           // 000000014524: 7D93ABC5
	v_cndmask_b32_e32 v47, 0, v47, vcc                         // 000000014528: 005E5E80
	v_cmp_lt_u32_e32 vcc, v197, v214                           // 00000001452C: 7D93ADC5
	v_cndmask_b32_e32 v63, 0, v63, vcc                         // 000000014530: 007E7E80
	v_add_u32_e32 v197, 0xc0, v196                             // 000000014534: 698B88FF 000000C0
	v_cmp_lt_u32_e32 vcc, v197, v211                           // 00000001453C: 7D93A7C5
	v_cndmask_b32_e32 v16, 0, v16, vcc                         // 000000014540: 00202080
	v_cmp_lt_u32_e32 vcc, v197, v212                           // 000000014544: 7D93A9C5
	v_cndmask_b32_e32 v32, 0, v32, vcc                         // 000000014548: 00404080
	v_cmp_lt_u32_e32 vcc, v197, v213                           // 00000001454C: 7D93ABC5
	v_cndmask_b32_e32 v48, 0, v48, vcc                         // 000000014550: 00606080
	v_cmp_lt_u32_e32 vcc, v197, v214                           // 000000014554: 7D93ADC5
	v_cndmask_b32_e32 v64, 0, v64, vcc                         // 000000014558: 00808080
	v_add_u32_e32 v197, 0xc1, v196                             // 00000001455C: 698B88FF 000000C1
	v_cmp_lt_u32_e32 vcc, v197, v211                           // 000000014564: 7D93A7C5
	v_cndmask_b32_e32 v17, 0, v17, vcc                         // 000000014568: 00222280
	v_cmp_lt_u32_e32 vcc, v197, v212                           // 00000001456C: 7D93A9C5
	v_cndmask_b32_e32 v33, 0, v33, vcc                         // 000000014570: 00424280
	v_cmp_lt_u32_e32 vcc, v197, v213                           // 000000014574: 7D93ABC5
	v_cndmask_b32_e32 v49, 0, v49, vcc                         // 000000014578: 00626280
	v_cmp_lt_u32_e32 vcc, v197, v214                           // 00000001457C: 7D93ADC5
	v_cndmask_b32_e32 v65, 0, v65, vcc                         // 000000014580: 00828280
	v_add_u32_e32 v197, 0xc2, v196                             // 000000014584: 698B88FF 000000C2
	v_cmp_lt_u32_e32 vcc, v197, v211                           // 00000001458C: 7D93A7C5
	v_cndmask_b32_e32 v18, 0, v18, vcc                         // 000000014590: 00242480
	v_cmp_lt_u32_e32 vcc, v197, v212                           // 000000014594: 7D93A9C5
	v_cndmask_b32_e32 v34, 0, v34, vcc                         // 000000014598: 00444480
	v_cmp_lt_u32_e32 vcc, v197, v213                           // 00000001459C: 7D93ABC5
	v_cndmask_b32_e32 v50, 0, v50, vcc                         // 0000000145A0: 00646480
	v_cmp_lt_u32_e32 vcc, v197, v214                           // 0000000145A4: 7D93ADC5
	v_cndmask_b32_e32 v66, 0, v66, vcc                         // 0000000145A8: 00848480
	v_add_u32_e32 v197, 0xc3, v196                             // 0000000145AC: 698B88FF 000000C3
	v_cmp_lt_u32_e32 vcc, v197, v211                           // 0000000145B4: 7D93A7C5
	v_cndmask_b32_e32 v19, 0, v19, vcc                         // 0000000145B8: 00262680
	v_cmp_lt_u32_e32 vcc, v197, v212                           // 0000000145BC: 7D93A9C5
	v_cndmask_b32_e32 v35, 0, v35, vcc                         // 0000000145C0: 00464680
	v_cmp_lt_u32_e32 vcc, v197, v213                           // 0000000145C4: 7D93ABC5
	v_cndmask_b32_e32 v51, 0, v51, vcc                         // 0000000145C8: 00666680
	v_cmp_lt_u32_e32 vcc, v197, v214                           // 0000000145CC: 7D93ADC5
	v_cndmask_b32_e32 v67, 0, v67, vcc                         // 0000000145D0: 00868680
	buffer_load_dword v141, v231, s[20:23], 0 offen            // 0000000145D4: E0501000 80058DE7
	s_waitcnt lgkmcnt(0)                                       // 0000000145DC: BF8CC07F
	s_barrier                                                  // 0000000145E0: BF8A0000
	buffer_load_dword v143, v232, s[24:27], 0 offen            // 0000000145E4: E0501000 80068FE8
	s_waitcnt lgkmcnt(0)                                       // 0000000145EC: BF8CC07F
	v_sub_f32_e32 v176, v176, v152                             // 0000000145F0: 056131B0
	v_sub_f32_e32 v177, v177, v153                             // 0000000145F4: 056333B1
	v_sub_f32_e32 v178, v178, v154                             // 0000000145F8: 056535B2
	v_sub_f32_e32 v179, v179, v155                             // 0000000145FC: 056737B3
	v_mul_f32_e32 v176, s46, v176                              // 000000014600: 0B61602E
	v_mul_f32_e32 v177, s46, v177                              // 000000014604: 0B63622E
	v_mul_f32_e32 v178, s46, v178                              // 000000014608: 0B65642E
	v_mul_f32_e32 v179, s46, v179                              // 00000001460C: 0B67662E
	v_exp_f32_e32 v176, v176                                   // 000000014610: 7F6041B0
	v_exp_f32_e32 v177, v177                                   // 000000014614: 7F6241B1
	v_exp_f32_e32 v178, v178                                   // 000000014618: 7F6441B2
	v_exp_f32_e32 v179, v179                                   // 00000001461C: 7F6641B3
	v_mul_f32_e32 v176, v142, v176                             // 000000014620: 0B61618E
	v_mul_f32_e32 v177, v142, v177                             // 000000014624: 0B63638E
	v_mul_f32_e32 v178, v142, v178                             // 000000014628: 0B65658E
	v_mul_f32_e32 v179, v142, v179                             // 00000001462C: 0B67678E
	v_add_f32_e32 v176, 0x3089705f, v176                       // 000000014630: 036160FF 3089705F
	v_add_f32_e32 v177, 0x3089705f, v177                       // 000000014638: 036362FF 3089705F
	v_add_f32_e32 v178, 0x3089705f, v178                       // 000000014640: 036564FF 3089705F
	v_add_f32_e32 v179, 0x3089705f, v179                       // 000000014648: 036766FF 3089705F
	v_rcp_f32_e32 v176, v176                                   // 000000014650: 7F6045B0
	v_rcp_f32_e32 v177, v177                                   // 000000014654: 7F6245B1
	v_rcp_f32_e32 v178, v178                                   // 000000014658: 7F6445B2
	v_rcp_f32_e32 v179, v179                                   // 00000001465C: 7F6645B3
	v_mul_f32_e32 v176, 0x43700000, v176                       // 000000014660: 0B6160FF 43700000
	v_mul_f32_e32 v177, 0x43700000, v177                       // 000000014668: 0B6362FF 43700000
	v_mul_f32_e32 v178, 0x43700000, v178                       // 000000014670: 0B6564FF 43700000
	v_mul_f32_e32 v179, 0x43700000, v179                       // 000000014678: 0B6766FF 43700000
	v_mul_f32_e32 v4, v176, v4                                 // 000000014680: 0A0809B0
	v_mul_f32_e32 v5, v176, v5                                 // 000000014684: 0A0A0BB0
	v_mul_f32_e32 v6, v176, v6                                 // 000000014688: 0A0C0DB0
	v_mul_f32_e32 v7, v176, v7                                 // 00000001468C: 0A0E0FB0
	v_mul_f32_e32 v8, v176, v8                                 // 000000014690: 0A1011B0
	v_mul_f32_e32 v9, v176, v9                                 // 000000014694: 0A1213B0
	v_mul_f32_e32 v10, v176, v10                               // 000000014698: 0A1415B0
	v_mul_f32_e32 v11, v176, v11                               // 00000001469C: 0A1617B0
	v_mul_f32_e32 v12, v176, v12                               // 0000000146A0: 0A1819B0
	v_mul_f32_e32 v13, v176, v13                               // 0000000146A4: 0A1A1BB0
	v_mul_f32_e32 v14, v176, v14                               // 0000000146A8: 0A1C1DB0
	v_mul_f32_e32 v15, v176, v15                               // 0000000146AC: 0A1E1FB0
	v_mul_f32_e32 v16, v176, v16                               // 0000000146B0: 0A2021B0
	v_mul_f32_e32 v17, v176, v17                               // 0000000146B4: 0A2223B0
	v_mul_f32_e32 v18, v176, v18                               // 0000000146B8: 0A2425B0
	v_mul_f32_e32 v19, v176, v19                               // 0000000146BC: 0A2627B0
	v_mul_f32_e32 v20, v177, v20                               // 0000000146C0: 0A2829B1
	v_mul_f32_e32 v21, v177, v21                               // 0000000146C4: 0A2A2BB1
	v_mul_f32_e32 v22, v177, v22                               // 0000000146C8: 0A2C2DB1
	v_mul_f32_e32 v23, v177, v23                               // 0000000146CC: 0A2E2FB1
	v_mul_f32_e32 v24, v177, v24                               // 0000000146D0: 0A3031B1
	v_mul_f32_e32 v25, v177, v25                               // 0000000146D4: 0A3233B1
	v_mul_f32_e32 v26, v177, v26                               // 0000000146D8: 0A3435B1
	v_mul_f32_e32 v27, v177, v27                               // 0000000146DC: 0A3637B1
	v_mul_f32_e32 v28, v177, v28                               // 0000000146E0: 0A3839B1
	v_mul_f32_e32 v29, v177, v29                               // 0000000146E4: 0A3A3BB1
	v_mul_f32_e32 v30, v177, v30                               // 0000000146E8: 0A3C3DB1
	v_mul_f32_e32 v31, v177, v31                               // 0000000146EC: 0A3E3FB1
	v_mul_f32_e32 v32, v177, v32                               // 0000000146F0: 0A4041B1
	v_mul_f32_e32 v33, v177, v33                               // 0000000146F4: 0A4243B1
	v_mul_f32_e32 v34, v177, v34                               // 0000000146F8: 0A4445B1
	v_mul_f32_e32 v35, v177, v35                               // 0000000146FC: 0A4647B1
	v_mul_f32_e32 v36, v178, v36                               // 000000014700: 0A4849B2
	v_mul_f32_e32 v37, v178, v37                               // 000000014704: 0A4A4BB2
	v_mul_f32_e32 v38, v178, v38                               // 000000014708: 0A4C4DB2
	v_mul_f32_e32 v39, v178, v39                               // 00000001470C: 0A4E4FB2
	v_mul_f32_e32 v40, v178, v40                               // 000000014710: 0A5051B2
	v_mul_f32_e32 v41, v178, v41                               // 000000014714: 0A5253B2
	v_mul_f32_e32 v42, v178, v42                               // 000000014718: 0A5455B2
	v_mul_f32_e32 v43, v178, v43                               // 00000001471C: 0A5657B2
	v_mul_f32_e32 v44, v178, v44                               // 000000014720: 0A5859B2
	v_mul_f32_e32 v45, v178, v45                               // 000000014724: 0A5A5BB2
	v_mul_f32_e32 v46, v178, v46                               // 000000014728: 0A5C5DB2
	v_mul_f32_e32 v47, v178, v47                               // 00000001472C: 0A5E5FB2
	v_mul_f32_e32 v48, v178, v48                               // 000000014730: 0A6061B2
	v_mul_f32_e32 v49, v178, v49                               // 000000014734: 0A6263B2
	v_mul_f32_e32 v50, v178, v50                               // 000000014738: 0A6465B2
	v_mul_f32_e32 v51, v178, v51                               // 00000001473C: 0A6667B2
	v_mul_f32_e32 v52, v179, v52                               // 000000014740: 0A6869B3
	v_mul_f32_e32 v53, v179, v53                               // 000000014744: 0A6A6BB3
	v_mul_f32_e32 v54, v179, v54                               // 000000014748: 0A6C6DB3
	v_mul_f32_e32 v55, v179, v55                               // 00000001474C: 0A6E6FB3
	v_mul_f32_e32 v56, v179, v56                               // 000000014750: 0A7071B3
	v_mul_f32_e32 v57, v179, v57                               // 000000014754: 0A7273B3
	v_mul_f32_e32 v58, v179, v58                               // 000000014758: 0A7475B3
	v_mul_f32_e32 v59, v179, v59                               // 00000001475C: 0A7677B3
	v_mul_f32_e32 v60, v179, v60                               // 000000014760: 0A7879B3
	v_mul_f32_e32 v61, v179, v61                               // 000000014764: 0A7A7BB3
	v_mul_f32_e32 v62, v179, v62                               // 000000014768: 0A7C7DB3
	v_mul_f32_e32 v63, v179, v63                               // 00000001476C: 0A7E7FB3
	v_mul_f32_e32 v64, v179, v64                               // 000000014770: 0A8081B3
	v_mul_f32_e32 v65, v179, v65                               // 000000014774: 0A8283B3
	v_mul_f32_e32 v66, v179, v66                               // 000000014778: 0A8485B3
	v_mul_f32_e32 v67, v179, v67                               // 00000001477C: 0A8687B3
	v_cvt_pk_fp8_f32 v4, v4, v5                                // 000000014780: D2A20004 00020B04
	v_cvt_pk_fp8_f32 v4, v6, v7 op_sel:[0,0,1]                 // 000000014788: D2A24004 00020F06
	v_cvt_pk_fp8_f32 v5, v8, v9                                // 000000014790: D2A20005 00021308
	v_cvt_pk_fp8_f32 v5, v10, v11 op_sel:[0,0,1]               // 000000014798: D2A24005 0002170A
	v_cvt_pk_fp8_f32 v6, v12, v13                              // 0000000147A0: D2A20006 00021B0C
	v_cvt_pk_fp8_f32 v6, v14, v15 op_sel:[0,0,1]               // 0000000147A8: D2A24006 00021F0E
	v_cvt_pk_fp8_f32 v7, v16, v17                              // 0000000147B0: D2A20007 00022310
	v_cvt_pk_fp8_f32 v7, v18, v19 op_sel:[0,0,1]               // 0000000147B8: D2A24007 00022712
	v_cvt_pk_fp8_f32 v8, v20, v21                              // 0000000147C0: D2A20008 00022B14
	v_cvt_pk_fp8_f32 v8, v22, v23 op_sel:[0,0,1]               // 0000000147C8: D2A24008 00022F16
	v_cvt_pk_fp8_f32 v9, v24, v25                              // 0000000147D0: D2A20009 00023318
	v_cvt_pk_fp8_f32 v9, v26, v27 op_sel:[0,0,1]               // 0000000147D8: D2A24009 0002371A
	v_cvt_pk_fp8_f32 v10, v28, v29                             // 0000000147E0: D2A2000A 00023B1C
	v_cvt_pk_fp8_f32 v10, v30, v31 op_sel:[0,0,1]              // 0000000147E8: D2A2400A 00023F1E
	v_cvt_pk_fp8_f32 v11, v32, v33                             // 0000000147F0: D2A2000B 00024320
	v_cvt_pk_fp8_f32 v11, v34, v35 op_sel:[0,0,1]              // 0000000147F8: D2A2400B 00024722
	v_cvt_pk_fp8_f32 v12, v36, v37                             // 000000014800: D2A2000C 00024B24
	v_cvt_pk_fp8_f32 v12, v38, v39 op_sel:[0,0,1]              // 000000014808: D2A2400C 00024F26
	v_cvt_pk_fp8_f32 v13, v40, v41                             // 000000014810: D2A2000D 00025328
	v_cvt_pk_fp8_f32 v13, v42, v43 op_sel:[0,0,1]              // 000000014818: D2A2400D 0002572A
	v_cvt_pk_fp8_f32 v14, v44, v45                             // 000000014820: D2A2000E 00025B2C
	v_cvt_pk_fp8_f32 v14, v46, v47 op_sel:[0,0,1]              // 000000014828: D2A2400E 00025F2E
	v_cvt_pk_fp8_f32 v15, v48, v49                             // 000000014830: D2A2000F 00026330
	v_cvt_pk_fp8_f32 v15, v50, v51 op_sel:[0,0,1]              // 000000014838: D2A2400F 00026732
	v_cvt_pk_fp8_f32 v16, v52, v53                             // 000000014840: D2A20010 00026B34
	v_cvt_pk_fp8_f32 v16, v54, v55 op_sel:[0,0,1]              // 000000014848: D2A24010 00026F36
	v_cvt_pk_fp8_f32 v17, v56, v57                             // 000000014850: D2A20011 00027338
	v_cvt_pk_fp8_f32 v17, v58, v59 op_sel:[0,0,1]              // 000000014858: D2A24011 0002773A
	v_cvt_pk_fp8_f32 v18, v60, v61                             // 000000014860: D2A20012 00027B3C
	v_cvt_pk_fp8_f32 v18, v62, v63 op_sel:[0,0,1]              // 000000014868: D2A24012 00027F3E
	v_cvt_pk_fp8_f32 v19, v64, v65                             // 000000014870: D2A20013 00028340
	v_cvt_pk_fp8_f32 v19, v66, v67 op_sel:[0,0,1]              // 000000014878: D2A24013 00028742
	ds_write_b32 v249, v4 offset:8192                          // 000000014880: D81A2000 000004F9
	ds_write_b32 v249, v5 offset:9216                          // 000000014888: D81A2400 000005F9
	ds_write_b32 v249, v6 offset:10240                         // 000000014890: D81A2800 000006F9
	ds_write_b32 v249, v7 offset:11264                         // 000000014898: D81A2C00 000007F9
	ds_write_b32 v249, v8 offset:12288                         // 0000000148A0: D81A3000 000008F9
	ds_write_b32 v249, v9 offset:13312                         // 0000000148A8: D81A3400 000009F9
	ds_write_b32 v249, v10 offset:14336                        // 0000000148B0: D81A3800 00000AF9
	ds_write_b32 v249, v11 offset:15360                        // 0000000148B8: D81A3C00 00000BF9
	ds_write_b32 v249, v12 offset:16384                        // 0000000148C0: D81A4000 00000CF9
	ds_write_b32 v249, v13 offset:17408                        // 0000000148C8: D81A4400 00000DF9
	ds_write_b32 v249, v14 offset:18432                        // 0000000148D0: D81A4800 00000EF9
	ds_write_b32 v249, v15 offset:19456                        // 0000000148D8: D81A4C00 00000FF9
	ds_write_b32 v249, v16 offset:20480                        // 0000000148E0: D81A5000 000010F9
	ds_write_b32 v249, v17 offset:21504                        // 0000000148E8: D81A5400 000011F9
	ds_write_b32 v249, v18 offset:22528                        // 0000000148F0: D81A5800 000012F9
	ds_write_b32 v249, v19 offset:23552                        // 0000000148F8: D81A5C00 000013F9
	v_rcp_f32_e32 v144, v176                                   // 000000014900: 7F2045B0
	v_rcp_f32_e32 v146, v177                                   // 000000014904: 7F2445B1
	v_rcp_f32_e32 v148, v178                                   // 000000014908: 7F2845B2
	v_rcp_f32_e32 v150, v179                                   // 00000001490C: 7F2C45B3
	v_mov_b32_e32 v145, v144                                   // 000000014910: 7F220390
	v_mov_b32_e32 v147, v146                                   // 000000014914: 7F260392
	v_mov_b32_e32 v149, v148                                   // 000000014918: 7F2A0394
	v_mov_b32_e32 v151, v150                                   // 00000001491C: 7F2E0396
	v_pk_add_f32 v[100:101], v[100:101], v[68:69]              // 000000014920: D3B24064 18028964
	v_pk_add_f32 v[102:103], v[102:103], v[70:71]              // 000000014928: D3B24066 18028D66
	v_pk_add_f32 v[104:105], v[104:105], v[72:73]              // 000000014930: D3B24068 18029168
	v_pk_add_f32 v[106:107], v[106:107], v[74:75]              // 000000014938: D3B2406A 1802956A
	v_pk_add_f32 v[108:109], v[108:109], v[76:77]              // 000000014940: D3B2406C 1802996C
	v_pk_add_f32 v[110:111], v[110:111], v[78:79]              // 000000014948: D3B2406E 18029D6E
	v_pk_add_f32 v[112:113], v[112:113], v[80:81]              // 000000014950: D3B24070 1802A170
	v_pk_add_f32 v[114:115], v[114:115], v[82:83]              // 000000014958: D3B24072 1802A572
	v_pk_add_f32 v[116:117], v[116:117], v[84:85]              // 000000014960: D3B24074 1802A974
	v_pk_add_f32 v[118:119], v[118:119], v[86:87]              // 000000014968: D3B24076 1802AD76
	v_pk_add_f32 v[120:121], v[120:121], v[88:89]              // 000000014970: D3B24078 1802B178
	v_pk_add_f32 v[122:123], v[122:123], v[90:91]              // 000000014978: D3B2407A 1802B57A
	v_pk_add_f32 v[124:125], v[124:125], v[92:93]              // 000000014980: D3B2407C 1802B97C
	v_pk_add_f32 v[126:127], v[126:127], v[94:95]              // 000000014988: D3B2407E 1802BD7E
	v_pk_add_f32 v[128:129], v[128:129], v[96:97]              // 000000014990: D3B24080 1802C180
	v_pk_add_f32 v[130:131], v[130:131], v[98:99]              // 000000014998: D3B24082 1802C582
	s_waitcnt lgkmcnt(0)                                       // 0000000149A0: BF8CC07F
	s_barrier                                                  // 0000000149A4: BF8A0000
	ds_read_b128 v[4:7], v250 offset:8192                      // 0000000149A8: D9FE2000 040000FA
	ds_read_b128 v[8:11], v250 offset:9216                     // 0000000149B0: D9FE2400 080000FA
	ds_read_b128 v[12:15], v250 offset:10240                   // 0000000149B8: D9FE2800 0C0000FA
	ds_read_b128 v[16:19], v250 offset:11264                   // 0000000149C0: D9FE2C00 100000FA
	ds_read_b128 v[20:23], v250 offset:12288                   // 0000000149C8: D9FE3000 140000FA
	ds_read_b128 v[24:27], v250 offset:13312                   // 0000000149D0: D9FE3400 180000FA
	ds_read_b128 v[28:31], v250 offset:14336                   // 0000000149D8: D9FE3800 1C0000FA
	ds_read_b128 v[32:35], v250 offset:15360                   // 0000000149E0: D9FE3C00 200000FA
	ds_read_b128 v[36:39], v250 offset:16384                   // 0000000149E8: D9FE4000 240000FA
	ds_read_b128 v[40:43], v250 offset:17408                   // 0000000149F0: D9FE4400 280000FA
	ds_read_b128 v[44:47], v250 offset:18432                   // 0000000149F8: D9FE4800 2C0000FA
	ds_read_b128 v[48:51], v250 offset:19456                   // 000000014A00: D9FE4C00 300000FA
	ds_read_b128 v[52:55], v250 offset:20480                   // 000000014A08: D9FE5000 340000FA
	ds_read_b128 v[56:59], v250 offset:21504                   // 000000014A10: D9FE5400 380000FA
	ds_read_b128 v[60:63], v250 offset:22528                   // 000000014A18: D9FE5800 3C0000FA
	ds_read_b128 v[64:67], v250 offset:23552                   // 000000014A20: D9FE5C00 400000FA
	s_waitcnt vmcnt(10)                                        // 000000014A28: BF8C0F7A
	v_lshrrev_b32_e32 v203, 4, v0                              // 000000014A2C: 21960084
	v_lshlrev_b32_e32 v203, 4, v203                            // 000000014A30: 25979684
	v_add_u32_e32 v196, s64, v203                              // 000000014A34: 69899640
	v_add_u32_e32 v196, 4, v196                                // 000000014A38: 69898884
	v_sub_i32 v196, v196, s62                                  // 000000014A3C: D29D00C4 00007DC4
	s_mov_b32 s54, 0                                           // 000000014A44: BEB60080
	v_add_i32 v197, s54, v196                                  // 000000014A48: D29C00C5 00038836
	v_cmp_lt_i32_e64 vcc, v197, 4                              // 000000014A50: D0C1006A 000109C5
	v_min_u32_e32 v197, 4, v197                                // 000000014A58: 1D8B8A84
	v_lshlrev_b32_e32 v197, 3, v197                            // 000000014A5C: 258B8A83
	v_lshrrev_b32_e64 v198, v197, -1                           // 000000014A60: D11000C6 000183C5
	v_accvgpr_read_b32 v199, a96                               // 000000014A68: D3D840C7 18000160
	v_cndmask_b32_e32 v199, 0, v199, vcc                       // 000000014A70: 018F8E80
	v_and_b32_e32 v199, v199, v198                             // 000000014A74: 278F8DC7
	v_accvgpr_write_b32 a96, v199                              // 000000014A78: D3D94060 180001C7
	v_accvgpr_read_b32 v199, a112                              // 000000014A80: D3D840C7 18000170
	v_cndmask_b32_e32 v199, 0, v199, vcc                       // 000000014A88: 018F8E80
	v_and_b32_e32 v199, v199, v198                             // 000000014A8C: 278F8DC7
	v_accvgpr_write_b32 a112, v199                             // 000000014A90: D3D94070 180001C7
	s_mov_b32 s54, 4                                           // 000000014A98: BEB60084
	v_add_i32 v197, s54, v196                                  // 000000014A9C: D29C00C5 00038836
	v_cmp_lt_i32_e64 vcc, v197, 4                              // 000000014AA4: D0C1006A 000109C5
	v_min_u32_e32 v197, 4, v197                                // 000000014AAC: 1D8B8A84
	v_lshlrev_b32_e32 v197, 3, v197                            // 000000014AB0: 258B8A83
	v_lshrrev_b32_e64 v198, v197, -1                           // 000000014AB4: D11000C6 000183C5
	v_accvgpr_read_b32 v199, a97                               // 000000014ABC: D3D840C7 18000161
	v_cndmask_b32_e32 v199, 0, v199, vcc                       // 000000014AC4: 018F8E80
	v_and_b32_e32 v199, v199, v198                             // 000000014AC8: 278F8DC7
	v_accvgpr_write_b32 a97, v199                              // 000000014ACC: D3D94061 180001C7
	v_accvgpr_read_b32 v199, a113                              // 000000014AD4: D3D840C7 18000171
	v_cndmask_b32_e32 v199, 0, v199, vcc                       // 000000014ADC: 018F8E80
	v_and_b32_e32 v199, v199, v198                             // 000000014AE0: 278F8DC7
	v_accvgpr_write_b32 a113, v199                             // 000000014AE4: D3D94071 180001C7
	s_mov_b32 s54, 8                                           // 000000014AEC: BEB60088
	v_add_i32 v197, s54, v196                                  // 000000014AF0: D29C00C5 00038836
	v_cmp_lt_i32_e64 vcc, v197, 4                              // 000000014AF8: D0C1006A 000109C5
	v_min_u32_e32 v197, 4, v197                                // 000000014B00: 1D8B8A84
	v_lshlrev_b32_e32 v197, 3, v197                            // 000000014B04: 258B8A83
	v_lshrrev_b32_e64 v198, v197, -1                           // 000000014B08: D11000C6 000183C5
	v_accvgpr_read_b32 v199, a98                               // 000000014B10: D3D840C7 18000162
	v_cndmask_b32_e32 v199, 0, v199, vcc                       // 000000014B18: 018F8E80
	v_and_b32_e32 v199, v199, v198                             // 000000014B1C: 278F8DC7
	v_accvgpr_write_b32 a98, v199                              // 000000014B20: D3D94062 180001C7
	v_accvgpr_read_b32 v199, a114                              // 000000014B28: D3D840C7 18000172
	v_cndmask_b32_e32 v199, 0, v199, vcc                       // 000000014B30: 018F8E80
	v_and_b32_e32 v199, v199, v198                             // 000000014B34: 278F8DC7
	v_accvgpr_write_b32 a114, v199                             // 000000014B38: D3D94072 180001C7
	s_mov_b32 s54, 12                                          // 000000014B40: BEB6008C
	v_add_i32 v197, s54, v196                                  // 000000014B44: D29C00C5 00038836
	v_cmp_lt_i32_e64 vcc, v197, 4                              // 000000014B4C: D0C1006A 000109C5
	v_min_u32_e32 v197, 4, v197                                // 000000014B54: 1D8B8A84
	v_lshlrev_b32_e32 v197, 3, v197                            // 000000014B58: 258B8A83
	v_lshrrev_b32_e64 v198, v197, -1                           // 000000014B5C: D11000C6 000183C5
	v_accvgpr_read_b32 v199, a99                               // 000000014B64: D3D840C7 18000163
	v_cndmask_b32_e32 v199, 0, v199, vcc                       // 000000014B6C: 018F8E80
	v_and_b32_e32 v199, v199, v198                             // 000000014B70: 278F8DC7
	v_accvgpr_write_b32 a99, v199                              // 000000014B74: D3D94063 180001C7
	v_accvgpr_read_b32 v199, a115                              // 000000014B7C: D3D840C7 18000173
	v_cndmask_b32_e32 v199, 0, v199, vcc                       // 000000014B84: 018F8E80
	v_and_b32_e32 v199, v199, v198                             // 000000014B88: 278F8DC7
	v_accvgpr_write_b32 a115, v199                             // 000000014B8C: D3D94073 180001C7
	s_mov_b32 s54, 64                                          // 000000014B94: BEB600C0
	v_add_i32 v197, s54, v196                                  // 000000014B98: D29C00C5 00038836
	v_cmp_lt_i32_e64 vcc, v197, 4                              // 000000014BA0: D0C1006A 000109C5
	v_min_u32_e32 v197, 4, v197                                // 000000014BA8: 1D8B8A84
	v_lshlrev_b32_e32 v197, 3, v197                            // 000000014BAC: 258B8A83
	v_lshrrev_b32_e64 v198, v197, -1                           // 000000014BB0: D11000C6 000183C5
	v_accvgpr_read_b32 v199, a100                              // 000000014BB8: D3D840C7 18000164
	v_cndmask_b32_e32 v199, 0, v199, vcc                       // 000000014BC0: 018F8E80
	v_and_b32_e32 v199, v199, v198                             // 000000014BC4: 278F8DC7
	v_accvgpr_write_b32 a100, v199                             // 000000014BC8: D3D94064 180001C7
	v_accvgpr_read_b32 v199, a116                              // 000000014BD0: D3D840C7 18000174
	v_cndmask_b32_e32 v199, 0, v199, vcc                       // 000000014BD8: 018F8E80
	v_and_b32_e32 v199, v199, v198                             // 000000014BDC: 278F8DC7
	v_accvgpr_write_b32 a116, v199                             // 000000014BE0: D3D94074 180001C7
	s_mov_b32 s54, 0x44                                        // 000000014BE8: BEB600FF 00000044
	v_add_i32 v197, s54, v196                                  // 000000014BF0: D29C00C5 00038836
	v_cmp_lt_i32_e64 vcc, v197, 4                              // 000000014BF8: D0C1006A 000109C5
	v_min_u32_e32 v197, 4, v197                                // 000000014C00: 1D8B8A84
	v_lshlrev_b32_e32 v197, 3, v197                            // 000000014C04: 258B8A83
	v_lshrrev_b32_e64 v198, v197, -1                           // 000000014C08: D11000C6 000183C5
	v_accvgpr_read_b32 v199, a101                              // 000000014C10: D3D840C7 18000165
	v_cndmask_b32_e32 v199, 0, v199, vcc                       // 000000014C18: 018F8E80
	v_and_b32_e32 v199, v199, v198                             // 000000014C1C: 278F8DC7
	v_accvgpr_write_b32 a101, v199                             // 000000014C20: D3D94065 180001C7
	v_accvgpr_read_b32 v199, a117                              // 000000014C28: D3D840C7 18000175
	v_cndmask_b32_e32 v199, 0, v199, vcc                       // 000000014C30: 018F8E80
	v_and_b32_e32 v199, v199, v198                             // 000000014C34: 278F8DC7
	v_accvgpr_write_b32 a117, v199                             // 000000014C38: D3D94075 180001C7
	s_mov_b32 s54, 0x48                                        // 000000014C40: BEB600FF 00000048
	v_add_i32 v197, s54, v196                                  // 000000014C48: D29C00C5 00038836
	v_cmp_lt_i32_e64 vcc, v197, 4                              // 000000014C50: D0C1006A 000109C5
	v_min_u32_e32 v197, 4, v197                                // 000000014C58: 1D8B8A84
	v_lshlrev_b32_e32 v197, 3, v197                            // 000000014C5C: 258B8A83
	v_lshrrev_b32_e64 v198, v197, -1                           // 000000014C60: D11000C6 000183C5
	v_accvgpr_read_b32 v199, a102                              // 000000014C68: D3D840C7 18000166
	v_cndmask_b32_e32 v199, 0, v199, vcc                       // 000000014C70: 018F8E80
	v_and_b32_e32 v199, v199, v198                             // 000000014C74: 278F8DC7
	v_accvgpr_write_b32 a102, v199                             // 000000014C78: D3D94066 180001C7
	v_accvgpr_read_b32 v199, a118                              // 000000014C80: D3D840C7 18000176
	v_cndmask_b32_e32 v199, 0, v199, vcc                       // 000000014C88: 018F8E80
	v_and_b32_e32 v199, v199, v198                             // 000000014C8C: 278F8DC7
	v_accvgpr_write_b32 a118, v199                             // 000000014C90: D3D94076 180001C7
	s_mov_b32 s54, 0x4c                                        // 000000014C98: BEB600FF 0000004C
	v_add_i32 v197, s54, v196                                  // 000000014CA0: D29C00C5 00038836
	v_cmp_lt_i32_e64 vcc, v197, 4                              // 000000014CA8: D0C1006A 000109C5
	v_min_u32_e32 v197, 4, v197                                // 000000014CB0: 1D8B8A84
	v_lshlrev_b32_e32 v197, 3, v197                            // 000000014CB4: 258B8A83
	v_lshrrev_b32_e64 v198, v197, -1                           // 000000014CB8: D11000C6 000183C5
	v_accvgpr_read_b32 v199, a103                              // 000000014CC0: D3D840C7 18000167
	v_cndmask_b32_e32 v199, 0, v199, vcc                       // 000000014CC8: 018F8E80
	v_and_b32_e32 v199, v199, v198                             // 000000014CCC: 278F8DC7
	v_accvgpr_write_b32 a103, v199                             // 000000014CD0: D3D94067 180001C7
	v_accvgpr_read_b32 v199, a119                              // 000000014CD8: D3D840C7 18000177
	v_cndmask_b32_e32 v199, 0, v199, vcc                       // 000000014CE0: 018F8E80
	v_and_b32_e32 v199, v199, v198                             // 000000014CE4: 278F8DC7
	v_accvgpr_write_b32 a119, v199                             // 000000014CE8: D3D94077 180001C7
	s_mov_b32 s54, 0x80                                        // 000000014CF0: BEB600FF 00000080
	v_add_i32 v197, s54, v196                                  // 000000014CF8: D29C00C5 00038836
	v_cmp_lt_i32_e64 vcc, v197, 4                              // 000000014D00: D0C1006A 000109C5
	v_min_u32_e32 v197, 4, v197                                // 000000014D08: 1D8B8A84
	v_lshlrev_b32_e32 v197, 3, v197                            // 000000014D0C: 258B8A83
	v_lshrrev_b32_e64 v198, v197, -1                           // 000000014D10: D11000C6 000183C5
	v_accvgpr_read_b32 v199, a104                              // 000000014D18: D3D840C7 18000168
	v_cndmask_b32_e32 v199, 0, v199, vcc                       // 000000014D20: 018F8E80
	v_and_b32_e32 v199, v199, v198                             // 000000014D24: 278F8DC7
	v_accvgpr_write_b32 a104, v199                             // 000000014D28: D3D94068 180001C7
	v_accvgpr_read_b32 v199, a120                              // 000000014D30: D3D840C7 18000178
	v_cndmask_b32_e32 v199, 0, v199, vcc                       // 000000014D38: 018F8E80
	v_and_b32_e32 v199, v199, v198                             // 000000014D3C: 278F8DC7
	v_accvgpr_write_b32 a120, v199                             // 000000014D40: D3D94078 180001C7
	s_mov_b32 s54, 0x84                                        // 000000014D48: BEB600FF 00000084
	v_add_i32 v197, s54, v196                                  // 000000014D50: D29C00C5 00038836
	v_cmp_lt_i32_e64 vcc, v197, 4                              // 000000014D58: D0C1006A 000109C5
	v_min_u32_e32 v197, 4, v197                                // 000000014D60: 1D8B8A84
	v_lshlrev_b32_e32 v197, 3, v197                            // 000000014D64: 258B8A83
	v_lshrrev_b32_e64 v198, v197, -1                           // 000000014D68: D11000C6 000183C5
	v_accvgpr_read_b32 v199, a105                              // 000000014D70: D3D840C7 18000169
	v_cndmask_b32_e32 v199, 0, v199, vcc                       // 000000014D78: 018F8E80
	v_and_b32_e32 v199, v199, v198                             // 000000014D7C: 278F8DC7
	v_accvgpr_write_b32 a105, v199                             // 000000014D80: D3D94069 180001C7
	v_accvgpr_read_b32 v199, a121                              // 000000014D88: D3D840C7 18000179
	v_cndmask_b32_e32 v199, 0, v199, vcc                       // 000000014D90: 018F8E80
	v_and_b32_e32 v199, v199, v198                             // 000000014D94: 278F8DC7
	v_accvgpr_write_b32 a121, v199                             // 000000014D98: D3D94079 180001C7
	s_mov_b32 s54, 0x88                                        // 000000014DA0: BEB600FF 00000088
	v_add_i32 v197, s54, v196                                  // 000000014DA8: D29C00C5 00038836
	v_cmp_lt_i32_e64 vcc, v197, 4                              // 000000014DB0: D0C1006A 000109C5
	v_min_u32_e32 v197, 4, v197                                // 000000014DB8: 1D8B8A84
	v_lshlrev_b32_e32 v197, 3, v197                            // 000000014DBC: 258B8A83
	v_lshrrev_b32_e64 v198, v197, -1                           // 000000014DC0: D11000C6 000183C5
	v_accvgpr_read_b32 v199, a106                              // 000000014DC8: D3D840C7 1800016A
	v_cndmask_b32_e32 v199, 0, v199, vcc                       // 000000014DD0: 018F8E80
	v_and_b32_e32 v199, v199, v198                             // 000000014DD4: 278F8DC7
	v_accvgpr_write_b32 a106, v199                             // 000000014DD8: D3D9406A 180001C7
	v_accvgpr_read_b32 v199, a122                              // 000000014DE0: D3D840C7 1800017A
	v_cndmask_b32_e32 v199, 0, v199, vcc                       // 000000014DE8: 018F8E80
	v_and_b32_e32 v199, v199, v198                             // 000000014DEC: 278F8DC7
	v_accvgpr_write_b32 a122, v199                             // 000000014DF0: D3D9407A 180001C7
	s_mov_b32 s54, 0x8c                                        // 000000014DF8: BEB600FF 0000008C
	v_add_i32 v197, s54, v196                                  // 000000014E00: D29C00C5 00038836
	v_cmp_lt_i32_e64 vcc, v197, 4                              // 000000014E08: D0C1006A 000109C5
	v_min_u32_e32 v197, 4, v197                                // 000000014E10: 1D8B8A84
	v_lshlrev_b32_e32 v197, 3, v197                            // 000000014E14: 258B8A83
	v_lshrrev_b32_e64 v198, v197, -1                           // 000000014E18: D11000C6 000183C5
	v_accvgpr_read_b32 v199, a107                              // 000000014E20: D3D840C7 1800016B
	v_cndmask_b32_e32 v199, 0, v199, vcc                       // 000000014E28: 018F8E80
	v_and_b32_e32 v199, v199, v198                             // 000000014E2C: 278F8DC7
	v_accvgpr_write_b32 a107, v199                             // 000000014E30: D3D9406B 180001C7
	v_accvgpr_read_b32 v199, a123                              // 000000014E38: D3D840C7 1800017B
	v_cndmask_b32_e32 v199, 0, v199, vcc                       // 000000014E40: 018F8E80
	v_and_b32_e32 v199, v199, v198                             // 000000014E44: 278F8DC7
	v_accvgpr_write_b32 a123, v199                             // 000000014E48: D3D9407B 180001C7
	s_mov_b32 s54, 0xc0                                        // 000000014E50: BEB600FF 000000C0
	v_add_i32 v197, s54, v196                                  // 000000014E58: D29C00C5 00038836
	v_cmp_lt_i32_e64 vcc, v197, 4                              // 000000014E60: D0C1006A 000109C5
	v_min_u32_e32 v197, 4, v197                                // 000000014E68: 1D8B8A84
	v_lshlrev_b32_e32 v197, 3, v197                            // 000000014E6C: 258B8A83
	v_lshrrev_b32_e64 v198, v197, -1                           // 000000014E70: D11000C6 000183C5
	v_accvgpr_read_b32 v199, a108                              // 000000014E78: D3D840C7 1800016C
	v_cndmask_b32_e32 v199, 0, v199, vcc                       // 000000014E80: 018F8E80
	v_and_b32_e32 v199, v199, v198                             // 000000014E84: 278F8DC7
	v_accvgpr_write_b32 a108, v199                             // 000000014E88: D3D9406C 180001C7
	v_accvgpr_read_b32 v199, a124                              // 000000014E90: D3D840C7 1800017C
	v_cndmask_b32_e32 v199, 0, v199, vcc                       // 000000014E98: 018F8E80
	v_and_b32_e32 v199, v199, v198                             // 000000014E9C: 278F8DC7
	v_accvgpr_write_b32 a124, v199                             // 000000014EA0: D3D9407C 180001C7
	s_mov_b32 s54, 0xc4                                        // 000000014EA8: BEB600FF 000000C4
	v_add_i32 v197, s54, v196                                  // 000000014EB0: D29C00C5 00038836
	v_cmp_lt_i32_e64 vcc, v197, 4                              // 000000014EB8: D0C1006A 000109C5
	v_min_u32_e32 v197, 4, v197                                // 000000014EC0: 1D8B8A84
	v_lshlrev_b32_e32 v197, 3, v197                            // 000000014EC4: 258B8A83
	v_lshrrev_b32_e64 v198, v197, -1                           // 000000014EC8: D11000C6 000183C5
	v_accvgpr_read_b32 v199, a109                              // 000000014ED0: D3D840C7 1800016D
	v_cndmask_b32_e32 v199, 0, v199, vcc                       // 000000014ED8: 018F8E80
	v_and_b32_e32 v199, v199, v198                             // 000000014EDC: 278F8DC7
	v_accvgpr_write_b32 a109, v199                             // 000000014EE0: D3D9406D 180001C7
	v_accvgpr_read_b32 v199, a125                              // 000000014EE8: D3D840C7 1800017D
	v_cndmask_b32_e32 v199, 0, v199, vcc                       // 000000014EF0: 018F8E80
	v_and_b32_e32 v199, v199, v198                             // 000000014EF4: 278F8DC7
	v_accvgpr_write_b32 a125, v199                             // 000000014EF8: D3D9407D 180001C7
	s_mov_b32 s54, 0xc8                                        // 000000014F00: BEB600FF 000000C8
	v_add_i32 v197, s54, v196                                  // 000000014F08: D29C00C5 00038836
	v_cmp_lt_i32_e64 vcc, v197, 4                              // 000000014F10: D0C1006A 000109C5
	v_min_u32_e32 v197, 4, v197                                // 000000014F18: 1D8B8A84
	v_lshlrev_b32_e32 v197, 3, v197                            // 000000014F1C: 258B8A83
	v_lshrrev_b32_e64 v198, v197, -1                           // 000000014F20: D11000C6 000183C5
	v_accvgpr_read_b32 v199, a110                              // 000000014F28: D3D840C7 1800016E
	v_cndmask_b32_e32 v199, 0, v199, vcc                       // 000000014F30: 018F8E80
	v_and_b32_e32 v199, v199, v198                             // 000000014F34: 278F8DC7
	v_accvgpr_write_b32 a110, v199                             // 000000014F38: D3D9406E 180001C7
	v_accvgpr_read_b32 v199, a126                              // 000000014F40: D3D840C7 1800017E
	v_cndmask_b32_e32 v199, 0, v199, vcc                       // 000000014F48: 018F8E80
	v_and_b32_e32 v199, v199, v198                             // 000000014F4C: 278F8DC7
	v_accvgpr_write_b32 a126, v199                             // 000000014F50: D3D9407E 180001C7
	s_mov_b32 s54, 0xcc                                        // 000000014F58: BEB600FF 000000CC
	v_add_i32 v197, s54, v196                                  // 000000014F60: D29C00C5 00038836
	v_cmp_lt_i32_e64 vcc, v197, 4                              // 000000014F68: D0C1006A 000109C5
	v_min_u32_e32 v197, 4, v197                                // 000000014F70: 1D8B8A84
	v_lshlrev_b32_e32 v197, 3, v197                            // 000000014F74: 258B8A83
	v_lshrrev_b32_e64 v198, v197, -1                           // 000000014F78: D11000C6 000183C5
	v_accvgpr_read_b32 v199, a111                              // 000000014F80: D3D840C7 1800016F
	v_cndmask_b32_e32 v199, 0, v199, vcc                       // 000000014F88: 018F8E80
	v_and_b32_e32 v199, v199, v198                             // 000000014F8C: 278F8DC7
	v_accvgpr_write_b32 a111, v199                             // 000000014F90: D3D9406F 180001C7
	v_accvgpr_read_b32 v199, a127                              // 000000014F98: D3D840C7 1800017F
	v_cndmask_b32_e32 v199, 0, v199, vcc                       // 000000014FA0: 018F8E80
	v_and_b32_e32 v199, v199, v198                             // 000000014FA4: 278F8DC7
	v_accvgpr_write_b32 a127, v199                             // 000000014FA8: D3D9407F 180001C7
	s_waitcnt vmcnt(63) expcnt(7) lgkmcnt(15)                  // 000000014FB0: BF8CCF7F
	v_mfma_f32_16x16x32_fp8_fp8 v[68:71], a[96:97], v[4:5], 0  // 000000014FB4: D3F30044 0A020960
	v_mfma_f32_16x16x32_fp8_fp8 v[72:75], a[112:113], v[4:5], 0// 000000014FBC: D3F30048 0A020970
	v_mfma_f32_16x16x32_fp8_fp8 v[68:71], a[98:99], v[6:7], v[68:71]// 000000014FC4: D3F30044 0D120D62
	buffer_load_dwordx4 a[128:131], v227, s[16:19], 0 offen    // 000000014FCC: E05C1000 808480E3
	v_mfma_f32_16x16x32_fp8_fp8 v[72:75], a[114:115], v[6:7], v[72:75]// 000000014FD4: D3F30048 0D220D72
	s_waitcnt lgkmcnt(14)                                      // 000000014FDC: BF8CCE7F
	v_mfma_f32_16x16x32_fp8_fp8 v[68:71], a[100:101], v[8:9], v[68:71]// 000000014FE0: D3F30044 0D121164
	v_mfma_f32_16x16x32_fp8_fp8 v[72:75], a[116:117], v[8:9], v[72:75]// 000000014FE8: D3F30048 0D221174
	v_mfma_f32_16x16x32_fp8_fp8 v[68:71], a[102:103], v[10:11], v[68:71]// 000000014FF0: D3F30044 0D121566
	buffer_load_dwordx4 a[132:135], v228, s[16:19], 0 offen    // 000000014FF8: E05C1000 808484E4
	v_mfma_f32_16x16x32_fp8_fp8 v[72:75], a[118:119], v[10:11], v[72:75]// 000000015000: D3F30048 0D221576
	s_waitcnt lgkmcnt(13)                                      // 000000015008: BF8CCD7F
	v_mfma_f32_16x16x32_fp8_fp8 v[68:71], a[104:105], v[12:13], v[68:71]// 00000001500C: D3F30044 0D121968
	v_mfma_f32_16x16x32_fp8_fp8 v[72:75], a[120:121], v[12:13], v[72:75]// 000000015014: D3F30048 0D221978
	v_mfma_f32_16x16x32_fp8_fp8 v[68:71], a[106:107], v[14:15], v[68:71]// 00000001501C: D3F30044 0D121D6A
	buffer_load_dwordx4 a[136:139], v229, s[16:19], 0 offen    // 000000015024: E05C1000 808488E5
	v_mfma_f32_16x16x32_fp8_fp8 v[72:75], a[122:123], v[14:15], v[72:75]// 00000001502C: D3F30048 0D221D7A
	s_waitcnt lgkmcnt(12)                                      // 000000015034: BF8CCC7F
	v_mfma_f32_16x16x32_fp8_fp8 v[68:71], a[108:109], v[16:17], v[68:71]// 000000015038: D3F30044 0D12216C
	v_mfma_f32_16x16x32_fp8_fp8 v[72:75], a[124:125], v[16:17], v[72:75]// 000000015040: D3F30048 0D22217C
	v_mfma_f32_16x16x32_fp8_fp8 v[68:71], a[110:111], v[18:19], v[68:71]// 000000015048: D3F30044 0D12256E
	buffer_load_dwordx4 a[140:143], v230, s[16:19], 0 offen    // 000000015050: E05C1000 80848CE6
	v_mfma_f32_16x16x32_fp8_fp8 v[72:75], a[126:127], v[18:19], v[72:75]// 000000015058: D3F30048 0D22257E
	s_waitcnt lgkmcnt(11)                                      // 000000015060: BF8CCB7F
	v_mfma_f32_16x16x32_fp8_fp8 v[76:79], a[96:97], v[20:21], 0// 000000015064: D3F3004C 0A022960
	v_mfma_f32_16x16x32_fp8_fp8 v[80:83], a[112:113], v[20:21], 0// 00000001506C: D3F30050 0A022970
	v_mfma_f32_16x16x32_fp8_fp8 v[76:79], a[98:99], v[22:23], v[76:79]// 000000015074: D3F3004C 0D322D62
	buffer_load_dwordx4 a[144:147], v227, s[16:19], 0 offen offset:1024// 00000001507C: E05C1400 808490E3
	v_mfma_f32_16x16x32_fp8_fp8 v[80:83], a[114:115], v[22:23], v[80:83]// 000000015084: D3F30050 0D422D72
	s_waitcnt lgkmcnt(10)                                      // 00000001508C: BF8CCA7F
	v_mfma_f32_16x16x32_fp8_fp8 v[76:79], a[100:101], v[24:25], v[76:79]// 000000015090: D3F3004C 0D323164
	v_mfma_f32_16x16x32_fp8_fp8 v[80:83], a[116:117], v[24:25], v[80:83]// 000000015098: D3F30050 0D423174
	v_mfma_f32_16x16x32_fp8_fp8 v[76:79], a[102:103], v[26:27], v[76:79]// 0000000150A0: D3F3004C 0D323566
	buffer_load_dwordx4 a[148:151], v228, s[16:19], 0 offen offset:1024// 0000000150A8: E05C1400 808494E4
	v_mfma_f32_16x16x32_fp8_fp8 v[80:83], a[118:119], v[26:27], v[80:83]// 0000000150B0: D3F30050 0D423576
	s_waitcnt lgkmcnt(9)                                       // 0000000150B8: BF8CC97F
	v_mfma_f32_16x16x32_fp8_fp8 v[76:79], a[104:105], v[28:29], v[76:79]// 0000000150BC: D3F3004C 0D323968
	v_mfma_f32_16x16x32_fp8_fp8 v[80:83], a[120:121], v[28:29], v[80:83]// 0000000150C4: D3F30050 0D423978
	v_mfma_f32_16x16x32_fp8_fp8 v[76:79], a[106:107], v[30:31], v[76:79]// 0000000150CC: D3F3004C 0D323D6A
	buffer_load_dwordx4 a[152:155], v229, s[16:19], 0 offen offset:1024// 0000000150D4: E05C1400 808498E5
	v_mfma_f32_16x16x32_fp8_fp8 v[80:83], a[122:123], v[30:31], v[80:83]// 0000000150DC: D3F30050 0D423D7A
	s_waitcnt lgkmcnt(8)                                       // 0000000150E4: BF8CC87F
	v_mfma_f32_16x16x32_fp8_fp8 v[76:79], a[108:109], v[32:33], v[76:79]// 0000000150E8: D3F3004C 0D32416C
	v_mfma_f32_16x16x32_fp8_fp8 v[80:83], a[124:125], v[32:33], v[80:83]// 0000000150F0: D3F30050 0D42417C
	v_mfma_f32_16x16x32_fp8_fp8 v[76:79], a[110:111], v[34:35], v[76:79]// 0000000150F8: D3F3004C 0D32456E
	buffer_load_dwordx4 a[156:159], v230, s[16:19], 0 offen offset:1024// 000000015100: E05C1400 80849CE6
	v_mfma_f32_16x16x32_fp8_fp8 v[80:83], a[126:127], v[34:35], v[80:83]// 000000015108: D3F30050 0D42457E
	s_waitcnt lgkmcnt(7)                                       // 000000015110: BF8CC77F
	v_mfma_f32_16x16x32_fp8_fp8 v[84:87], a[96:97], v[36:37], 0// 000000015114: D3F30054 0A024960
	v_mfma_f32_16x16x32_fp8_fp8 v[88:91], a[112:113], v[36:37], 0// 00000001511C: D3F30058 0A024970
	v_mfma_f32_16x16x32_fp8_fp8 v[84:87], a[98:99], v[38:39], v[84:87]// 000000015124: D3F30054 0D524D62
	v_mfma_f32_16x16x32_fp8_fp8 v[88:91], a[114:115], v[38:39], v[88:91]// 00000001512C: D3F30058 0D624D72
	s_waitcnt lgkmcnt(6)                                       // 000000015134: BF8CC67F
	v_mfma_f32_16x16x32_fp8_fp8 v[84:87], a[100:101], v[40:41], v[84:87]// 000000015138: D3F30054 0D525164
	v_mfma_f32_16x16x32_fp8_fp8 v[88:91], a[116:117], v[40:41], v[88:91]// 000000015140: D3F30058 0D625174
	v_mfma_f32_16x16x32_fp8_fp8 v[84:87], a[102:103], v[42:43], v[84:87]// 000000015148: D3F30054 0D525566
	v_mfma_f32_16x16x32_fp8_fp8 v[88:91], a[118:119], v[42:43], v[88:91]// 000000015150: D3F30058 0D625576
	s_waitcnt lgkmcnt(5)                                       // 000000015158: BF8CC57F
	v_mfma_f32_16x16x32_fp8_fp8 v[84:87], a[104:105], v[44:45], v[84:87]// 00000001515C: D3F30054 0D525968
	v_mfma_f32_16x16x32_fp8_fp8 v[88:91], a[120:121], v[44:45], v[88:91]// 000000015164: D3F30058 0D625978
	v_mfma_f32_16x16x32_fp8_fp8 v[84:87], a[106:107], v[46:47], v[84:87]// 00000001516C: D3F30054 0D525D6A
	v_mfma_f32_16x16x32_fp8_fp8 v[88:91], a[122:123], v[46:47], v[88:91]// 000000015174: D3F30058 0D625D7A
	s_waitcnt lgkmcnt(4)                                       // 00000001517C: BF8CC47F
	v_mfma_f32_16x16x32_fp8_fp8 v[84:87], a[108:109], v[48:49], v[84:87]// 000000015180: D3F30054 0D52616C
	v_mfma_f32_16x16x32_fp8_fp8 v[88:91], a[124:125], v[48:49], v[88:91]// 000000015188: D3F30058 0D62617C
	v_mfma_f32_16x16x32_fp8_fp8 v[84:87], a[110:111], v[50:51], v[84:87]// 000000015190: D3F30054 0D52656E
	v_mfma_f32_16x16x32_fp8_fp8 v[88:91], a[126:127], v[50:51], v[88:91]// 000000015198: D3F30058 0D62657E
	s_waitcnt lgkmcnt(3)                                       // 0000000151A0: BF8CC37F
	v_mfma_f32_16x16x32_fp8_fp8 v[92:95], a[96:97], v[52:53], 0// 0000000151A4: D3F3005C 0A026960
	v_mfma_f32_16x16x32_fp8_fp8 v[96:99], a[112:113], v[52:53], 0// 0000000151AC: D3F30060 0A026970
	v_mfma_f32_16x16x32_fp8_fp8 v[92:95], a[98:99], v[54:55], v[92:95]// 0000000151B4: D3F3005C 0D726D62
	v_mfma_f32_16x16x32_fp8_fp8 v[96:99], a[114:115], v[54:55], v[96:99]// 0000000151BC: D3F30060 0D826D72
	s_waitcnt lgkmcnt(2)                                       // 0000000151C4: BF8CC27F
	v_mfma_f32_16x16x32_fp8_fp8 v[92:95], a[100:101], v[56:57], v[92:95]// 0000000151C8: D3F3005C 0D727164
	v_mfma_f32_16x16x32_fp8_fp8 v[96:99], a[116:117], v[56:57], v[96:99]// 0000000151D0: D3F30060 0D827174
	v_mfma_f32_16x16x32_fp8_fp8 v[92:95], a[102:103], v[58:59], v[92:95]// 0000000151D8: D3F3005C 0D727566
	v_mfma_f32_16x16x32_fp8_fp8 v[96:99], a[118:119], v[58:59], v[96:99]// 0000000151E0: D3F30060 0D827576
	s_waitcnt lgkmcnt(1)                                       // 0000000151E8: BF8CC17F
	v_mfma_f32_16x16x32_fp8_fp8 v[92:95], a[104:105], v[60:61], v[92:95]// 0000000151EC: D3F3005C 0D727968
	v_mfma_f32_16x16x32_fp8_fp8 v[96:99], a[120:121], v[60:61], v[96:99]// 0000000151F4: D3F30060 0D827978
	v_mfma_f32_16x16x32_fp8_fp8 v[92:95], a[106:107], v[62:63], v[92:95]// 0000000151FC: D3F3005C 0D727D6A
	v_mfma_f32_16x16x32_fp8_fp8 v[96:99], a[122:123], v[62:63], v[96:99]// 000000015204: D3F30060 0D827D7A
	s_waitcnt lgkmcnt(0)                                       // 00000001520C: BF8CC07F
	v_mfma_f32_16x16x32_fp8_fp8 v[92:95], a[108:109], v[64:65], v[92:95]// 000000015210: D3F3005C 0D72816C
	v_mfma_f32_16x16x32_fp8_fp8 v[96:99], a[124:125], v[64:65], v[96:99]// 000000015218: D3F30060 0D82817C
	v_mfma_f32_16x16x32_fp8_fp8 v[92:95], a[110:111], v[66:67], v[92:95]// 000000015220: D3F3005C 0D72856E
	v_mfma_f32_16x16x32_fp8_fp8 v[96:99], a[126:127], v[66:67], v[96:99]// 000000015228: D3F30060 0D82857E
	s_addk_i32 s64, 0x100                                      // 000000015230: B7400100

0000000000015234 <label_4B0D>:
	s_cmp_lt_i32 s64, s62                                      // 000000015234: BF043E40
	s_cbranch_scc0 label_5418                                  // 000000015238: BF840909
	s_waitcnt vmcnt(10)                                        // 00000001523C: BF8C0F7A
	v_mfma_f32_16x16x32_fp8_fp8 v[4:7], a[64:65], a[0:1], 0    // 000000015240: D3F30004 1A020140
	s_add_u32 s12, s86, s69                                    // 000000015248: 800C4556
	s_addc_u32 s13, s87, 0                                     // 00000001524C: 820D8057
	v_mfma_f32_16x16x32_fp8_fp8 v[4:7], a[66:67], a[2:3], v[4:7]// 000000015250: D3F30004 1C120542
	s_add_u32 s16, s88, s70                                    // 000000015258: 80104658
	s_addc_u32 s17, s89, 0                                     // 00000001525C: 82118059
	v_mfma_f32_16x16x32_fp8_fp8 v[4:7], a[68:69], a[4:5], v[4:7]// 000000015260: D3F30004 1C120944
	buffer_load_dwordx4 a[32:35], v225, s[12:15], 0 offen      // 000000015268: E05C1000 808320E1
	v_mfma_f32_16x16x32_fp8_fp8 v[4:7], a[70:71], a[6:7], v[4:7]// 000000015270: D3F30004 1C120D46
	s_add_u32 s20, s90, s71                                    // 000000015278: 8014475A
	s_addc_u32 s21, s91, 0                                     // 00000001527C: 8215805B
	v_mfma_f32_16x16x32_fp8_fp8 v[8:11], a[72:73], a[0:1], 0   // 000000015280: D3F30008 1A020148
	s_add_u32 s24, s92, s71                                    // 000000015288: 8018475C
	s_addc_u32 s25, s93, 0                                     // 00000001528C: 8219805D
	v_mfma_f32_16x16x32_fp8_fp8 v[8:11], a[74:75], a[2:3], v[8:11]// 000000015290: D3F30008 1C22054A
	s_add_u32 s69, s69, 0x1000                                 // 000000015298: 8045FF45 00001000
	s_add_u32 s70, s70, 0x8000                                 // 0000000152A0: 8046FF46 00008000
	v_mfma_f32_16x16x32_fp8_fp8 v[8:11], a[76:77], a[4:5], v[8:11]// 0000000152A8: D3F30008 1C22094C
	buffer_load_dwordx4 a[36:39], v226, s[12:15], 0 offen      // 0000000152B0: E05C1000 808324E2
	v_mfma_f32_16x16x32_fp8_fp8 v[8:11], a[78:79], a[6:7], v[8:11]// 0000000152B8: D3F30008 1C220D4E
	v_mfma_f32_16x16x32_fp8_fp8 v[12:15], a[80:81], a[0:1], 0  // 0000000152C0: D3F3000C 1A020150
	v_mfma_f32_16x16x32_fp8_fp8 v[12:15], a[82:83], a[2:3], v[12:15]// 0000000152C8: D3F3000C 1C320552
	v_mfma_f32_16x16x32_fp8_fp8 v[12:15], a[84:85], a[4:5], v[12:15]// 0000000152D0: D3F3000C 1C320954
	buffer_load_dwordx4 a[40:43], v225, s[12:15], 0 offen offset:1024// 0000000152D8: E05C1400 808328E1
	v_mfma_f32_16x16x32_fp8_fp8 v[12:15], a[86:87], a[6:7], v[12:15]// 0000000152E0: D3F3000C 1C320D56
	v_mfma_f32_16x16x32_fp8_fp8 v[16:19], a[88:89], a[0:1], 0  // 0000000152E8: D3F30010 1A020158
	v_mfma_f32_16x16x32_fp8_fp8 v[16:19], a[90:91], a[2:3], v[16:19]// 0000000152F0: D3F30010 1C42055A
	v_mfma_f32_16x16x32_fp8_fp8 v[16:19], a[92:93], a[4:5], v[16:19]// 0000000152F8: D3F30010 1C42095C
	buffer_load_dwordx4 a[44:47], v226, s[12:15], 0 offen offset:1024// 000000015300: E05C1400 80832CE2
	v_mfma_f32_16x16x32_fp8_fp8 v[16:19], a[94:95], a[6:7], v[16:19]// 000000015308: D3F30010 1C420D5E
	v_mfma_f32_16x16x32_fp8_fp8 v[20:23], a[64:65], a[8:9], 0  // 000000015310: D3F30014 1A021140
	v_mfma_f32_16x16x32_fp8_fp8 v[20:23], a[66:67], a[10:11], v[20:23]// 000000015318: D3F30014 1C521542
	v_mfma_f32_16x16x32_fp8_fp8 v[20:23], a[68:69], a[12:13], v[20:23]// 000000015320: D3F30014 1C521944
	buffer_load_dwordx4 a[48:51], v225, s[12:15], 0 offen offset:2048// 000000015328: E05C1800 808330E1
	v_mfma_f32_16x16x32_fp8_fp8 v[20:23], a[70:71], a[14:15], v[20:23]// 000000015330: D3F30014 1C521D46
	v_mfma_f32_16x16x32_fp8_fp8 v[24:27], a[72:73], a[8:9], 0  // 000000015338: D3F30018 1A021148
	v_mfma_f32_16x16x32_fp8_fp8 v[24:27], a[74:75], a[10:11], v[24:27]// 000000015340: D3F30018 1C62154A
	v_mfma_f32_16x16x32_fp8_fp8 v[24:27], a[76:77], a[12:13], v[24:27]// 000000015348: D3F30018 1C62194C
	buffer_load_dwordx4 a[52:55], v226, s[12:15], 0 offen offset:2048// 000000015350: E05C1800 808334E2
	v_mfma_f32_16x16x32_fp8_fp8 v[24:27], a[78:79], a[14:15], v[24:27]// 000000015358: D3F30018 1C621D4E
	v_mfma_f32_16x16x32_fp8_fp8 v[28:31], a[80:81], a[8:9], 0  // 000000015360: D3F3001C 1A021150
	v_mfma_f32_16x16x32_fp8_fp8 v[28:31], a[82:83], a[10:11], v[28:31]// 000000015368: D3F3001C 1C721552
	v_mfma_f32_16x16x32_fp8_fp8 v[28:31], a[84:85], a[12:13], v[28:31]// 000000015370: D3F3001C 1C721954
	buffer_load_dwordx4 a[56:59], v225, s[12:15], 0 offen offset:3072// 000000015378: E05C1C00 808338E1
	v_mfma_f32_16x16x32_fp8_fp8 v[28:31], a[86:87], a[14:15], v[28:31]// 000000015380: D3F3001C 1C721D56
	v_mfma_f32_16x16x32_fp8_fp8 v[32:35], a[88:89], a[8:9], 0  // 000000015388: D3F30020 1A021158
	v_mfma_f32_16x16x32_fp8_fp8 v[32:35], a[90:91], a[10:11], v[32:35]// 000000015390: D3F30020 1C82155A
	v_mfma_f32_16x16x32_fp8_fp8 v[32:35], a[92:93], a[12:13], v[32:35]// 000000015398: D3F30020 1C82195C
	buffer_load_dwordx4 a[60:63], v226, s[12:15], 0 offen offset:3072// 0000000153A0: E05C1C00 80833CE2
	v_mfma_f32_16x16x32_fp8_fp8 v[32:35], a[94:95], a[14:15], v[32:35]// 0000000153A8: D3F30020 1C821D5E
	v_mfma_f32_16x16x32_fp8_fp8 v[36:39], a[64:65], a[16:17], 0// 0000000153B0: D3F30024 1A022140
	v_mfma_f32_16x16x32_fp8_fp8 v[36:39], a[66:67], a[18:19], v[36:39]// 0000000153B8: D3F30024 1C922542
	v_mfma_f32_16x16x32_fp8_fp8 v[36:39], a[68:69], a[20:21], v[36:39]// 0000000153C0: D3F30024 1C922944
	v_mfma_f32_16x16x32_fp8_fp8 v[36:39], a[70:71], a[22:23], v[36:39]// 0000000153C8: D3F30024 1C922D46
	v_mfma_f32_16x16x32_fp8_fp8 v[40:43], a[72:73], a[16:17], 0// 0000000153D0: D3F30028 1A022148
	v_mfma_f32_16x16x32_fp8_fp8 v[40:43], a[74:75], a[18:19], v[40:43]// 0000000153D8: D3F30028 1CA2254A
	v_mfma_f32_16x16x32_fp8_fp8 v[40:43], a[76:77], a[20:21], v[40:43]// 0000000153E0: D3F30028 1CA2294C
	v_mfma_f32_16x16x32_fp8_fp8 v[40:43], a[78:79], a[22:23], v[40:43]// 0000000153E8: D3F30028 1CA22D4E
	v_mfma_f32_16x16x32_fp8_fp8 v[44:47], a[80:81], a[16:17], 0// 0000000153F0: D3F3002C 1A022150
	v_mfma_f32_16x16x32_fp8_fp8 v[44:47], a[82:83], a[18:19], v[44:47]// 0000000153F8: D3F3002C 1CB22552
	v_mfma_f32_16x16x32_fp8_fp8 v[44:47], a[84:85], a[20:21], v[44:47]// 000000015400: D3F3002C 1CB22954
	v_mfma_f32_16x16x32_fp8_fp8 v[44:47], a[86:87], a[22:23], v[44:47]// 000000015408: D3F3002C 1CB22D56
	v_mfma_f32_16x16x32_fp8_fp8 v[48:51], a[88:89], a[16:17], 0// 000000015410: D3F30030 1A022158
	v_mfma_f32_16x16x32_fp8_fp8 v[48:51], a[90:91], a[18:19], v[48:51]// 000000015418: D3F30030 1CC2255A
	v_mfma_f32_16x16x32_fp8_fp8 v[48:51], a[92:93], a[20:21], v[48:51]// 000000015420: D3F30030 1CC2295C
	v_mfma_f32_16x16x32_fp8_fp8 v[48:51], a[94:95], a[22:23], v[48:51]// 000000015428: D3F30030 1CC22D5E
	v_mfma_f32_16x16x32_fp8_fp8 v[52:55], a[64:65], a[24:25], 0// 000000015430: D3F30034 1A023140
	v_mfma_f32_16x16x32_fp8_fp8 v[52:55], a[66:67], a[26:27], v[52:55]// 000000015438: D3F30034 1CD23542
	v_mfma_f32_16x16x32_fp8_fp8 v[52:55], a[68:69], a[28:29], v[52:55]// 000000015440: D3F30034 1CD23944
	v_mfma_f32_16x16x32_fp8_fp8 v[52:55], a[70:71], a[30:31], v[52:55]// 000000015448: D3F30034 1CD23D46
	v_mfma_f32_16x16x32_fp8_fp8 v[56:59], a[72:73], a[24:25], 0// 000000015450: D3F30038 1A023148
	v_mfma_f32_16x16x32_fp8_fp8 v[56:59], a[74:75], a[26:27], v[56:59]// 000000015458: D3F30038 1CE2354A
	v_mfma_f32_16x16x32_fp8_fp8 v[56:59], a[76:77], a[28:29], v[56:59]// 000000015460: D3F30038 1CE2394C
	v_mfma_f32_16x16x32_fp8_fp8 v[56:59], a[78:79], a[30:31], v[56:59]// 000000015468: D3F30038 1CE23D4E
	v_mfma_f32_16x16x32_fp8_fp8 v[60:63], a[80:81], a[24:25], 0// 000000015470: D3F3003C 1A023150
	v_mfma_f32_16x16x32_fp8_fp8 v[60:63], a[82:83], a[26:27], v[60:63]// 000000015478: D3F3003C 1CF23552
	v_mfma_f32_16x16x32_fp8_fp8 v[60:63], a[84:85], a[28:29], v[60:63]// 000000015480: D3F3003C 1CF23954
	v_mfma_f32_16x16x32_fp8_fp8 v[60:63], a[86:87], a[30:31], v[60:63]// 000000015488: D3F3003C 1CF23D56
	v_mfma_f32_16x16x32_fp8_fp8 v[64:67], a[88:89], a[24:25], 0// 000000015490: D3F30040 1A023158
	v_mfma_f32_16x16x32_fp8_fp8 v[64:67], a[90:91], a[26:27], v[64:67]// 000000015498: D3F30040 1D02355A
	v_mfma_f32_16x16x32_fp8_fp8 v[64:67], a[92:93], a[28:29], v[64:67]// 0000000154A0: D3F30040 1D02395C
	v_mfma_f32_16x16x32_fp8_fp8 v[64:67], a[94:95], a[30:31], v[64:67]// 0000000154A8: D3F30040 1D023D5E
	s_waitcnt vmcnt(16)                                        // 0000000154B0: BF8C4F70
	v_pk_mul_f32 v[4:5], v[132:133], v[4:5]                    // 0000000154B4: D3B14004 18020984
	v_pk_mul_f32 v[6:7], v[132:133], v[6:7]                    // 0000000154BC: D3B14006 18020D84
	v_mul_f32_dpp v4, v141, v4 row_newbcast:0 row_mask:0xf bank_mask:0xf// 0000000154C4: 0A0808FA FF01508D
	v_mul_f32_dpp v5, v141, v5 row_newbcast:1 row_mask:0xf bank_mask:0xf// 0000000154CC: 0A0A0AFA FF01518D
	v_mul_f32_dpp v6, v141, v6 row_newbcast:2 row_mask:0xf bank_mask:0xf// 0000000154D4: 0A0C0CFA FF01528D
	v_mul_f32_dpp v7, v141, v7 row_newbcast:3 row_mask:0xf bank_mask:0xf// 0000000154DC: 0A0E0EFA FF01538D
	v_pk_mul_f32 v[8:9], v[132:133], v[8:9]                    // 0000000154E4: D3B14008 18021184
	v_pk_mul_f32 v[10:11], v[132:133], v[10:11]                // 0000000154EC: D3B1400A 18021584
	v_mul_f32_dpp v8, v141, v8 row_newbcast:4 row_mask:0xf bank_mask:0xf// 0000000154F4: 0A1010FA FF01548D
	v_mul_f32_dpp v9, v141, v9 row_newbcast:5 row_mask:0xf bank_mask:0xf// 0000000154FC: 0A1212FA FF01558D
	v_mul_f32_dpp v10, v141, v10 row_newbcast:6 row_mask:0xf bank_mask:0xf// 000000015504: 0A1414FA FF01568D
	v_mul_f32_dpp v11, v141, v11 row_newbcast:7 row_mask:0xf bank_mask:0xf// 00000001550C: 0A1616FA FF01578D
	v_pk_mul_f32 v[12:13], v[132:133], v[12:13]                // 000000015514: D3B1400C 18021984
	v_pk_mul_f32 v[14:15], v[132:133], v[14:15]                // 00000001551C: D3B1400E 18021D84
	v_mul_f32_dpp v12, v141, v12 row_newbcast:8 row_mask:0xf bank_mask:0xf// 000000015524: 0A1818FA FF01588D
	v_mul_f32_dpp v13, v141, v13 row_newbcast:9 row_mask:0xf bank_mask:0xf// 00000001552C: 0A1A1AFA FF01598D
	v_mul_f32_dpp v14, v141, v14 row_newbcast:10 row_mask:0xf bank_mask:0xf// 000000015534: 0A1C1CFA FF015A8D
	v_mul_f32_dpp v15, v141, v15 row_newbcast:11 row_mask:0xf bank_mask:0xf// 00000001553C: 0A1E1EFA FF015B8D
	v_pk_mul_f32 v[16:17], v[132:133], v[16:17]                // 000000015544: D3B14010 18022184
	v_pk_mul_f32 v[18:19], v[132:133], v[18:19]                // 00000001554C: D3B14012 18022584
	v_mul_f32_dpp v16, v141, v16 row_newbcast:12 row_mask:0xf bank_mask:0xf// 000000015554: 0A2020FA FF015C8D
	v_mul_f32_dpp v17, v141, v17 row_newbcast:13 row_mask:0xf bank_mask:0xf// 00000001555C: 0A2222FA FF015D8D
	v_mul_f32_dpp v18, v141, v18 row_newbcast:14 row_mask:0xf bank_mask:0xf// 000000015564: 0A2424FA FF015E8D
	v_mul_f32_dpp v19, v141, v19 row_newbcast:15 row_mask:0xf bank_mask:0xf// 00000001556C: 0A2626FA FF015F8D
	v_pk_mul_f32 v[20:21], v[134:135], v[20:21]                // 000000015574: D3B14014 18022986
	v_pk_mul_f32 v[22:23], v[134:135], v[22:23]                // 00000001557C: D3B14016 18022D86
	v_mul_f32_dpp v20, v141, v20 row_newbcast:0 row_mask:0xf bank_mask:0xf// 000000015584: 0A2828FA FF01508D
	v_mul_f32_dpp v21, v141, v21 row_newbcast:1 row_mask:0xf bank_mask:0xf// 00000001558C: 0A2A2AFA FF01518D
	v_mul_f32_dpp v22, v141, v22 row_newbcast:2 row_mask:0xf bank_mask:0xf// 000000015594: 0A2C2CFA FF01528D
	v_mul_f32_dpp v23, v141, v23 row_newbcast:3 row_mask:0xf bank_mask:0xf// 00000001559C: 0A2E2EFA FF01538D
	v_pk_mul_f32 v[24:25], v[134:135], v[24:25]                // 0000000155A4: D3B14018 18023186
	v_pk_mul_f32 v[26:27], v[134:135], v[26:27]                // 0000000155AC: D3B1401A 18023586
	v_mul_f32_dpp v24, v141, v24 row_newbcast:4 row_mask:0xf bank_mask:0xf// 0000000155B4: 0A3030FA FF01548D
	v_mul_f32_dpp v25, v141, v25 row_newbcast:5 row_mask:0xf bank_mask:0xf// 0000000155BC: 0A3232FA FF01558D
	v_mul_f32_dpp v26, v141, v26 row_newbcast:6 row_mask:0xf bank_mask:0xf// 0000000155C4: 0A3434FA FF01568D
	v_mul_f32_dpp v27, v141, v27 row_newbcast:7 row_mask:0xf bank_mask:0xf// 0000000155CC: 0A3636FA FF01578D
	v_pk_mul_f32 v[28:29], v[134:135], v[28:29]                // 0000000155D4: D3B1401C 18023986
	v_pk_mul_f32 v[30:31], v[134:135], v[30:31]                // 0000000155DC: D3B1401E 18023D86
	v_mul_f32_dpp v28, v141, v28 row_newbcast:8 row_mask:0xf bank_mask:0xf// 0000000155E4: 0A3838FA FF01588D
	v_mul_f32_dpp v29, v141, v29 row_newbcast:9 row_mask:0xf bank_mask:0xf// 0000000155EC: 0A3A3AFA FF01598D
	v_mul_f32_dpp v30, v141, v30 row_newbcast:10 row_mask:0xf bank_mask:0xf// 0000000155F4: 0A3C3CFA FF015A8D
	v_mul_f32_dpp v31, v141, v31 row_newbcast:11 row_mask:0xf bank_mask:0xf// 0000000155FC: 0A3E3EFA FF015B8D
	v_pk_mul_f32 v[32:33], v[134:135], v[32:33]                // 000000015604: D3B14020 18024186
	v_pk_mul_f32 v[34:35], v[134:135], v[34:35]                // 00000001560C: D3B14022 18024586
	v_mul_f32_dpp v32, v141, v32 row_newbcast:12 row_mask:0xf bank_mask:0xf// 000000015614: 0A4040FA FF015C8D
	v_mul_f32_dpp v33, v141, v33 row_newbcast:13 row_mask:0xf bank_mask:0xf// 00000001561C: 0A4242FA FF015D8D
	v_mul_f32_dpp v34, v141, v34 row_newbcast:14 row_mask:0xf bank_mask:0xf// 000000015624: 0A4444FA FF015E8D
	v_mul_f32_dpp v35, v141, v35 row_newbcast:15 row_mask:0xf bank_mask:0xf// 00000001562C: 0A4646FA FF015F8D
	v_pk_mul_f32 v[36:37], v[136:137], v[36:37]                // 000000015634: D3B14024 18024988
	v_pk_mul_f32 v[38:39], v[136:137], v[38:39]                // 00000001563C: D3B14026 18024D88
	v_mul_f32_dpp v36, v141, v36 row_newbcast:0 row_mask:0xf bank_mask:0xf// 000000015644: 0A4848FA FF01508D
	v_mul_f32_dpp v37, v141, v37 row_newbcast:1 row_mask:0xf bank_mask:0xf// 00000001564C: 0A4A4AFA FF01518D
	v_mul_f32_dpp v38, v141, v38 row_newbcast:2 row_mask:0xf bank_mask:0xf// 000000015654: 0A4C4CFA FF01528D
	v_mul_f32_dpp v39, v141, v39 row_newbcast:3 row_mask:0xf bank_mask:0xf// 00000001565C: 0A4E4EFA FF01538D
	v_pk_mul_f32 v[40:41], v[136:137], v[40:41]                // 000000015664: D3B14028 18025188
	v_pk_mul_f32 v[42:43], v[136:137], v[42:43]                // 00000001566C: D3B1402A 18025588
	v_mul_f32_dpp v40, v141, v40 row_newbcast:4 row_mask:0xf bank_mask:0xf// 000000015674: 0A5050FA FF01548D
	v_mul_f32_dpp v41, v141, v41 row_newbcast:5 row_mask:0xf bank_mask:0xf// 00000001567C: 0A5252FA FF01558D
	v_mul_f32_dpp v42, v141, v42 row_newbcast:6 row_mask:0xf bank_mask:0xf// 000000015684: 0A5454FA FF01568D
	v_mul_f32_dpp v43, v141, v43 row_newbcast:7 row_mask:0xf bank_mask:0xf// 00000001568C: 0A5656FA FF01578D
	v_pk_mul_f32 v[44:45], v[136:137], v[44:45]                // 000000015694: D3B1402C 18025988
	v_pk_mul_f32 v[46:47], v[136:137], v[46:47]                // 00000001569C: D3B1402E 18025D88
	v_mul_f32_dpp v44, v141, v44 row_newbcast:8 row_mask:0xf bank_mask:0xf// 0000000156A4: 0A5858FA FF01588D
	v_mul_f32_dpp v45, v141, v45 row_newbcast:9 row_mask:0xf bank_mask:0xf// 0000000156AC: 0A5A5AFA FF01598D
	v_mul_f32_dpp v46, v141, v46 row_newbcast:10 row_mask:0xf bank_mask:0xf// 0000000156B4: 0A5C5CFA FF015A8D
	v_mul_f32_dpp v47, v141, v47 row_newbcast:11 row_mask:0xf bank_mask:0xf// 0000000156BC: 0A5E5EFA FF015B8D
	v_pk_mul_f32 v[48:49], v[136:137], v[48:49]                // 0000000156C4: D3B14030 18026188
	v_pk_mul_f32 v[50:51], v[136:137], v[50:51]                // 0000000156CC: D3B14032 18026588
	v_mul_f32_dpp v48, v141, v48 row_newbcast:12 row_mask:0xf bank_mask:0xf// 0000000156D4: 0A6060FA FF015C8D
	v_mul_f32_dpp v49, v141, v49 row_newbcast:13 row_mask:0xf bank_mask:0xf// 0000000156DC: 0A6262FA FF015D8D
	v_mul_f32_dpp v50, v141, v50 row_newbcast:14 row_mask:0xf bank_mask:0xf// 0000000156E4: 0A6464FA FF015E8D
	v_mul_f32_dpp v51, v141, v51 row_newbcast:15 row_mask:0xf bank_mask:0xf// 0000000156EC: 0A6666FA FF015F8D
	v_pk_mul_f32 v[52:53], v[138:139], v[52:53]                // 0000000156F4: D3B14034 1802698A
	v_pk_mul_f32 v[54:55], v[138:139], v[54:55]                // 0000000156FC: D3B14036 18026D8A
	v_mul_f32_dpp v52, v141, v52 row_newbcast:0 row_mask:0xf bank_mask:0xf// 000000015704: 0A6868FA FF01508D
	v_mul_f32_dpp v53, v141, v53 row_newbcast:1 row_mask:0xf bank_mask:0xf// 00000001570C: 0A6A6AFA FF01518D
	v_mul_f32_dpp v54, v141, v54 row_newbcast:2 row_mask:0xf bank_mask:0xf// 000000015714: 0A6C6CFA FF01528D
	v_mul_f32_dpp v55, v141, v55 row_newbcast:3 row_mask:0xf bank_mask:0xf// 00000001571C: 0A6E6EFA FF01538D
	v_pk_mul_f32 v[56:57], v[138:139], v[56:57]                // 000000015724: D3B14038 1802718A
	v_pk_mul_f32 v[58:59], v[138:139], v[58:59]                // 00000001572C: D3B1403A 1802758A
	v_mul_f32_dpp v56, v141, v56 row_newbcast:4 row_mask:0xf bank_mask:0xf// 000000015734: 0A7070FA FF01548D
	v_mul_f32_dpp v57, v141, v57 row_newbcast:5 row_mask:0xf bank_mask:0xf// 00000001573C: 0A7272FA FF01558D
	v_mul_f32_dpp v58, v141, v58 row_newbcast:6 row_mask:0xf bank_mask:0xf// 000000015744: 0A7474FA FF01568D
	v_mul_f32_dpp v59, v141, v59 row_newbcast:7 row_mask:0xf bank_mask:0xf// 00000001574C: 0A7676FA FF01578D
	v_pk_mul_f32 v[60:61], v[138:139], v[60:61]                // 000000015754: D3B1403C 1802798A
	v_pk_mul_f32 v[62:63], v[138:139], v[62:63]                // 00000001575C: D3B1403E 18027D8A
	v_mul_f32_dpp v60, v141, v60 row_newbcast:8 row_mask:0xf bank_mask:0xf// 000000015764: 0A7878FA FF01588D
	v_mul_f32_dpp v61, v141, v61 row_newbcast:9 row_mask:0xf bank_mask:0xf// 00000001576C: 0A7A7AFA FF01598D
	v_mul_f32_dpp v62, v141, v62 row_newbcast:10 row_mask:0xf bank_mask:0xf// 000000015774: 0A7C7CFA FF015A8D
	v_mul_f32_dpp v63, v141, v63 row_newbcast:11 row_mask:0xf bank_mask:0xf// 00000001577C: 0A7E7EFA FF015B8D
	v_pk_mul_f32 v[64:65], v[138:139], v[64:65]                // 000000015784: D3B14040 1802818A
	v_pk_mul_f32 v[66:67], v[138:139], v[66:67]                // 00000001578C: D3B14042 1802858A
	v_mul_f32_dpp v64, v141, v64 row_newbcast:12 row_mask:0xf bank_mask:0xf// 000000015794: 0A8080FA FF015C8D
	v_mul_f32_dpp v65, v141, v65 row_newbcast:13 row_mask:0xf bank_mask:0xf// 00000001579C: 0A8282FA FF015D8D
	v_mul_f32_dpp v66, v141, v66 row_newbcast:14 row_mask:0xf bank_mask:0xf// 0000000157A4: 0A8484FA FF015E8D
	v_mul_f32_dpp v67, v141, v67 row_newbcast:15 row_mask:0xf bank_mask:0xf// 0000000157AC: 0A8686FA FF015F8D
	v_add_u32_e32 v196, s64, v215                              // 0000000157B4: 6989AE40
	v_add_u32_e32 v197, 0, v196                                // 0000000157B8: 698B8880
	v_cmp_lt_u32_e64 s[98:99], v197, v211                      // 0000000157BC: D0C90062 0003A7C5
	s_nop 0                                                    // 0000000157C4: BF800000
	v_cndmask_b32_e64 v4, v216, v4, s[98:99]                   // 0000000157C8: D1000004 018A09D8
	v_add_u32_e32 v197, 1, v196                                // 0000000157D0: 698B8881
	v_cmp_lt_u32_e64 s[98:99], v197, v211                      // 0000000157D4: D0C90062 0003A7C5
	s_nop 0                                                    // 0000000157DC: BF800000
	v_cndmask_b32_e64 v5, v216, v5, s[98:99]                   // 0000000157E0: D1000005 018A0BD8
	v_add_u32_e32 v197, 2, v196                                // 0000000157E8: 698B8882
	v_cmp_lt_u32_e64 s[98:99], v197, v211                      // 0000000157EC: D0C90062 0003A7C5
	s_nop 0                                                    // 0000000157F4: BF800000
	v_cndmask_b32_e64 v6, v216, v6, s[98:99]                   // 0000000157F8: D1000006 018A0DD8
	v_add_u32_e32 v197, 3, v196                                // 000000015800: 698B8883
	v_cmp_lt_u32_e64 s[98:99], v197, v211                      // 000000015804: D0C90062 0003A7C5
	s_nop 0                                                    // 00000001580C: BF800000
	v_cndmask_b32_e64 v7, v216, v7, s[98:99]                   // 000000015810: D1000007 018A0FD8
	v_add_u32_e32 v197, 64, v196                               // 000000015818: 698B88C0
	v_cmp_lt_u32_e64 s[98:99], v197, v211                      // 00000001581C: D0C90062 0003A7C5
	s_nop 0                                                    // 000000015824: BF800000
	v_cndmask_b32_e64 v8, v216, v8, s[98:99]                   // 000000015828: D1000008 018A11D8
	v_add_u32_e32 v197, 0x41, v196                             // 000000015830: 698B88FF 00000041
	v_cmp_lt_u32_e64 s[98:99], v197, v211                      // 000000015838: D0C90062 0003A7C5
	s_nop 0                                                    // 000000015840: BF800000
	v_cndmask_b32_e64 v9, v216, v9, s[98:99]                   // 000000015844: D1000009 018A13D8
	v_add_u32_e32 v197, 0x42, v196                             // 00000001584C: 698B88FF 00000042
	v_cmp_lt_u32_e64 s[98:99], v197, v211                      // 000000015854: D0C90062 0003A7C5
	s_nop 0                                                    // 00000001585C: BF800000
	v_cndmask_b32_e64 v10, v216, v10, s[98:99]                 // 000000015860: D100000A 018A15D8
	v_add_u32_e32 v197, 0x43, v196                             // 000000015868: 698B88FF 00000043
	v_cmp_lt_u32_e64 s[98:99], v197, v211                      // 000000015870: D0C90062 0003A7C5
	s_nop 0                                                    // 000000015878: BF800000
	v_cndmask_b32_e64 v11, v216, v11, s[98:99]                 // 00000001587C: D100000B 018A17D8
	v_add_u32_e32 v197, 0x80, v196                             // 000000015884: 698B88FF 00000080
	v_cmp_lt_u32_e64 s[98:99], v197, v211                      // 00000001588C: D0C90062 0003A7C5
	s_nop 0                                                    // 000000015894: BF800000
	v_cndmask_b32_e64 v12, v216, v12, s[98:99]                 // 000000015898: D100000C 018A19D8
	v_add_u32_e32 v197, 0x81, v196                             // 0000000158A0: 698B88FF 00000081
	v_cmp_lt_u32_e64 s[98:99], v197, v211                      // 0000000158A8: D0C90062 0003A7C5
	s_nop 0                                                    // 0000000158B0: BF800000
	v_cndmask_b32_e64 v13, v216, v13, s[98:99]                 // 0000000158B4: D100000D 018A1BD8
	v_add_u32_e32 v197, 0x82, v196                             // 0000000158BC: 698B88FF 00000082
	v_cmp_lt_u32_e64 s[98:99], v197, v211                      // 0000000158C4: D0C90062 0003A7C5
	s_nop 0                                                    // 0000000158CC: BF800000
	v_cndmask_b32_e64 v14, v216, v14, s[98:99]                 // 0000000158D0: D100000E 018A1DD8
	v_add_u32_e32 v197, 0x83, v196                             // 0000000158D8: 698B88FF 00000083
	v_cmp_lt_u32_e64 s[98:99], v197, v211                      // 0000000158E0: D0C90062 0003A7C5
	s_nop 0                                                    // 0000000158E8: BF800000
	v_cndmask_b32_e64 v15, v216, v15, s[98:99]                 // 0000000158EC: D100000F 018A1FD8
	v_add_u32_e32 v197, 0xc0, v196                             // 0000000158F4: 698B88FF 000000C0
	v_cmp_lt_u32_e64 s[98:99], v197, v211                      // 0000000158FC: D0C90062 0003A7C5
	s_nop 0                                                    // 000000015904: BF800000
	v_cndmask_b32_e64 v16, v216, v16, s[98:99]                 // 000000015908: D1000010 018A21D8
	v_add_u32_e32 v197, 0xc1, v196                             // 000000015910: 698B88FF 000000C1
	v_cmp_lt_u32_e64 s[98:99], v197, v211                      // 000000015918: D0C90062 0003A7C5
	s_nop 0                                                    // 000000015920: BF800000
	v_cndmask_b32_e64 v17, v216, v17, s[98:99]                 // 000000015924: D1000011 018A23D8
	v_add_u32_e32 v197, 0xc2, v196                             // 00000001592C: 698B88FF 000000C2
	v_cmp_lt_u32_e64 s[98:99], v197, v211                      // 000000015934: D0C90062 0003A7C5
	s_nop 0                                                    // 00000001593C: BF800000
	v_cndmask_b32_e64 v18, v216, v18, s[98:99]                 // 000000015940: D1000012 018A25D8
	v_add_u32_e32 v197, 0xc3, v196                             // 000000015948: 698B88FF 000000C3
	v_cmp_lt_u32_e64 s[98:99], v197, v211                      // 000000015950: D0C90062 0003A7C5
	s_nop 0                                                    // 000000015958: BF800000
	v_cndmask_b32_e64 v19, v216, v19, s[98:99]                 // 00000001595C: D1000013 018A27D8
	v_add_u32_e32 v197, 0, v196                                // 000000015964: 698B8880
	v_cmp_lt_u32_e64 s[98:99], v197, v212                      // 000000015968: D0C90062 0003A9C5
	s_nop 0                                                    // 000000015970: BF800000
	v_cndmask_b32_e64 v20, v216, v20, s[98:99]                 // 000000015974: D1000014 018A29D8
	v_add_u32_e32 v197, 1, v196                                // 00000001597C: 698B8881
	v_cmp_lt_u32_e64 s[98:99], v197, v212                      // 000000015980: D0C90062 0003A9C5
	s_nop 0                                                    // 000000015988: BF800000
	v_cndmask_b32_e64 v21, v216, v21, s[98:99]                 // 00000001598C: D1000015 018A2BD8
	v_add_u32_e32 v197, 2, v196                                // 000000015994: 698B8882
	v_cmp_lt_u32_e64 s[98:99], v197, v212                      // 000000015998: D0C90062 0003A9C5
	s_nop 0                                                    // 0000000159A0: BF800000
	v_cndmask_b32_e64 v22, v216, v22, s[98:99]                 // 0000000159A4: D1000016 018A2DD8
	v_add_u32_e32 v197, 3, v196                                // 0000000159AC: 698B8883
	v_cmp_lt_u32_e64 s[98:99], v197, v212                      // 0000000159B0: D0C90062 0003A9C5
	s_nop 0                                                    // 0000000159B8: BF800000
	v_cndmask_b32_e64 v23, v216, v23, s[98:99]                 // 0000000159BC: D1000017 018A2FD8
	v_add_u32_e32 v197, 64, v196                               // 0000000159C4: 698B88C0
	v_cmp_lt_u32_e64 s[98:99], v197, v212                      // 0000000159C8: D0C90062 0003A9C5
	s_nop 0                                                    // 0000000159D0: BF800000
	v_cndmask_b32_e64 v24, v216, v24, s[98:99]                 // 0000000159D4: D1000018 018A31D8
	v_add_u32_e32 v197, 0x41, v196                             // 0000000159DC: 698B88FF 00000041
	v_cmp_lt_u32_e64 s[98:99], v197, v212                      // 0000000159E4: D0C90062 0003A9C5
	s_nop 0                                                    // 0000000159EC: BF800000
	v_cndmask_b32_e64 v25, v216, v25, s[98:99]                 // 0000000159F0: D1000019 018A33D8
	v_add_u32_e32 v197, 0x42, v196                             // 0000000159F8: 698B88FF 00000042
	v_cmp_lt_u32_e64 s[98:99], v197, v212                      // 000000015A00: D0C90062 0003A9C5
	s_nop 0                                                    // 000000015A08: BF800000
	v_cndmask_b32_e64 v26, v216, v26, s[98:99]                 // 000000015A0C: D100001A 018A35D8
	v_add_u32_e32 v197, 0x43, v196                             // 000000015A14: 698B88FF 00000043
	v_cmp_lt_u32_e64 s[98:99], v197, v212                      // 000000015A1C: D0C90062 0003A9C5
	s_nop 0                                                    // 000000015A24: BF800000
	v_cndmask_b32_e64 v27, v216, v27, s[98:99]                 // 000000015A28: D100001B 018A37D8
	v_add_u32_e32 v197, 0x80, v196                             // 000000015A30: 698B88FF 00000080
	v_cmp_lt_u32_e64 s[98:99], v197, v212                      // 000000015A38: D0C90062 0003A9C5
	s_nop 0                                                    // 000000015A40: BF800000
	v_cndmask_b32_e64 v28, v216, v28, s[98:99]                 // 000000015A44: D100001C 018A39D8
	v_add_u32_e32 v197, 0x81, v196                             // 000000015A4C: 698B88FF 00000081
	v_cmp_lt_u32_e64 s[98:99], v197, v212                      // 000000015A54: D0C90062 0003A9C5
	s_nop 0                                                    // 000000015A5C: BF800000
	v_cndmask_b32_e64 v29, v216, v29, s[98:99]                 // 000000015A60: D100001D 018A3BD8
	v_add_u32_e32 v197, 0x82, v196                             // 000000015A68: 698B88FF 00000082
	v_cmp_lt_u32_e64 s[98:99], v197, v212                      // 000000015A70: D0C90062 0003A9C5
	s_nop 0                                                    // 000000015A78: BF800000
	v_cndmask_b32_e64 v30, v216, v30, s[98:99]                 // 000000015A7C: D100001E 018A3DD8
	v_add_u32_e32 v197, 0x83, v196                             // 000000015A84: 698B88FF 00000083
	v_cmp_lt_u32_e64 s[98:99], v197, v212                      // 000000015A8C: D0C90062 0003A9C5
	s_nop 0                                                    // 000000015A94: BF800000
	v_cndmask_b32_e64 v31, v216, v31, s[98:99]                 // 000000015A98: D100001F 018A3FD8
	v_add_u32_e32 v197, 0xc0, v196                             // 000000015AA0: 698B88FF 000000C0
	v_cmp_lt_u32_e64 s[98:99], v197, v212                      // 000000015AA8: D0C90062 0003A9C5
	s_nop 0                                                    // 000000015AB0: BF800000
	v_cndmask_b32_e64 v32, v216, v32, s[98:99]                 // 000000015AB4: D1000020 018A41D8
	v_add_u32_e32 v197, 0xc1, v196                             // 000000015ABC: 698B88FF 000000C1
	v_cmp_lt_u32_e64 s[98:99], v197, v212                      // 000000015AC4: D0C90062 0003A9C5
	s_nop 0                                                    // 000000015ACC: BF800000
	v_cndmask_b32_e64 v33, v216, v33, s[98:99]                 // 000000015AD0: D1000021 018A43D8
	v_add_u32_e32 v197, 0xc2, v196                             // 000000015AD8: 698B88FF 000000C2
	v_cmp_lt_u32_e64 s[98:99], v197, v212                      // 000000015AE0: D0C90062 0003A9C5
	s_nop 0                                                    // 000000015AE8: BF800000
	v_cndmask_b32_e64 v34, v216, v34, s[98:99]                 // 000000015AEC: D1000022 018A45D8
	v_add_u32_e32 v197, 0xc3, v196                             // 000000015AF4: 698B88FF 000000C3
	v_cmp_lt_u32_e64 s[98:99], v197, v212                      // 000000015AFC: D0C90062 0003A9C5
	s_nop 0                                                    // 000000015B04: BF800000
	v_cndmask_b32_e64 v35, v216, v35, s[98:99]                 // 000000015B08: D1000023 018A47D8
	v_add_u32_e32 v197, 0, v196                                // 000000015B10: 698B8880
	v_cmp_lt_u32_e64 s[98:99], v197, v213                      // 000000015B14: D0C90062 0003ABC5
	s_nop 0                                                    // 000000015B1C: BF800000
	v_cndmask_b32_e64 v36, v216, v36, s[98:99]                 // 000000015B20: D1000024 018A49D8
	v_add_u32_e32 v197, 1, v196                                // 000000015B28: 698B8881
	v_cmp_lt_u32_e64 s[98:99], v197, v213                      // 000000015B2C: D0C90062 0003ABC5
	s_nop 0                                                    // 000000015B34: BF800000
	v_cndmask_b32_e64 v37, v216, v37, s[98:99]                 // 000000015B38: D1000025 018A4BD8
	v_add_u32_e32 v197, 2, v196                                // 000000015B40: 698B8882
	v_cmp_lt_u32_e64 s[98:99], v197, v213                      // 000000015B44: D0C90062 0003ABC5
	s_nop 0                                                    // 000000015B4C: BF800000
	v_cndmask_b32_e64 v38, v216, v38, s[98:99]                 // 000000015B50: D1000026 018A4DD8
	v_add_u32_e32 v197, 3, v196                                // 000000015B58: 698B8883
	v_cmp_lt_u32_e64 s[98:99], v197, v213                      // 000000015B5C: D0C90062 0003ABC5
	s_nop 0                                                    // 000000015B64: BF800000
	v_cndmask_b32_e64 v39, v216, v39, s[98:99]                 // 000000015B68: D1000027 018A4FD8
	v_add_u32_e32 v197, 64, v196                               // 000000015B70: 698B88C0
	v_cmp_lt_u32_e64 s[98:99], v197, v213                      // 000000015B74: D0C90062 0003ABC5
	s_nop 0                                                    // 000000015B7C: BF800000
	v_cndmask_b32_e64 v40, v216, v40, s[98:99]                 // 000000015B80: D1000028 018A51D8
	v_add_u32_e32 v197, 0x41, v196                             // 000000015B88: 698B88FF 00000041
	v_cmp_lt_u32_e64 s[98:99], v197, v213                      // 000000015B90: D0C90062 0003ABC5
	s_nop 0                                                    // 000000015B98: BF800000
	v_cndmask_b32_e64 v41, v216, v41, s[98:99]                 // 000000015B9C: D1000029 018A53D8
	v_add_u32_e32 v197, 0x42, v196                             // 000000015BA4: 698B88FF 00000042
	v_cmp_lt_u32_e64 s[98:99], v197, v213                      // 000000015BAC: D0C90062 0003ABC5
	s_nop 0                                                    // 000000015BB4: BF800000
	v_cndmask_b32_e64 v42, v216, v42, s[98:99]                 // 000000015BB8: D100002A 018A55D8
	v_add_u32_e32 v197, 0x43, v196                             // 000000015BC0: 698B88FF 00000043
	v_cmp_lt_u32_e64 s[98:99], v197, v213                      // 000000015BC8: D0C90062 0003ABC5
	s_nop 0                                                    // 000000015BD0: BF800000
	v_cndmask_b32_e64 v43, v216, v43, s[98:99]                 // 000000015BD4: D100002B 018A57D8
	v_add_u32_e32 v197, 0x80, v196                             // 000000015BDC: 698B88FF 00000080
	v_cmp_lt_u32_e64 s[98:99], v197, v213                      // 000000015BE4: D0C90062 0003ABC5
	s_nop 0                                                    // 000000015BEC: BF800000
	v_cndmask_b32_e64 v44, v216, v44, s[98:99]                 // 000000015BF0: D100002C 018A59D8
	v_add_u32_e32 v197, 0x81, v196                             // 000000015BF8: 698B88FF 00000081
	v_cmp_lt_u32_e64 s[98:99], v197, v213                      // 000000015C00: D0C90062 0003ABC5
	s_nop 0                                                    // 000000015C08: BF800000
	v_cndmask_b32_e64 v45, v216, v45, s[98:99]                 // 000000015C0C: D100002D 018A5BD8
	v_add_u32_e32 v197, 0x82, v196                             // 000000015C14: 698B88FF 00000082
	v_cmp_lt_u32_e64 s[98:99], v197, v213                      // 000000015C1C: D0C90062 0003ABC5
	s_nop 0                                                    // 000000015C24: BF800000
	v_cndmask_b32_e64 v46, v216, v46, s[98:99]                 // 000000015C28: D100002E 018A5DD8
	v_add_u32_e32 v197, 0x83, v196                             // 000000015C30: 698B88FF 00000083
	v_cmp_lt_u32_e64 s[98:99], v197, v213                      // 000000015C38: D0C90062 0003ABC5
	s_nop 0                                                    // 000000015C40: BF800000
	v_cndmask_b32_e64 v47, v216, v47, s[98:99]                 // 000000015C44: D100002F 018A5FD8
	v_add_u32_e32 v197, 0xc0, v196                             // 000000015C4C: 698B88FF 000000C0
	v_cmp_lt_u32_e64 s[98:99], v197, v213                      // 000000015C54: D0C90062 0003ABC5
	s_nop 0                                                    // 000000015C5C: BF800000
	v_cndmask_b32_e64 v48, v216, v48, s[98:99]                 // 000000015C60: D1000030 018A61D8
	v_add_u32_e32 v197, 0xc1, v196                             // 000000015C68: 698B88FF 000000C1
	v_cmp_lt_u32_e64 s[98:99], v197, v213                      // 000000015C70: D0C90062 0003ABC5
	s_nop 0                                                    // 000000015C78: BF800000
	v_cndmask_b32_e64 v49, v216, v49, s[98:99]                 // 000000015C7C: D1000031 018A63D8
	v_add_u32_e32 v197, 0xc2, v196                             // 000000015C84: 698B88FF 000000C2
	v_cmp_lt_u32_e64 s[98:99], v197, v213                      // 000000015C8C: D0C90062 0003ABC5
	s_nop 0                                                    // 000000015C94: BF800000
	v_cndmask_b32_e64 v50, v216, v50, s[98:99]                 // 000000015C98: D1000032 018A65D8
	v_add_u32_e32 v197, 0xc3, v196                             // 000000015CA0: 698B88FF 000000C3
	v_cmp_lt_u32_e64 s[98:99], v197, v213                      // 000000015CA8: D0C90062 0003ABC5
	s_nop 0                                                    // 000000015CB0: BF800000
	v_cndmask_b32_e64 v51, v216, v51, s[98:99]                 // 000000015CB4: D1000033 018A67D8
	v_add_u32_e32 v197, 0, v196                                // 000000015CBC: 698B8880
	v_cmp_lt_u32_e64 s[98:99], v197, v214                      // 000000015CC0: D0C90062 0003ADC5
	s_nop 0                                                    // 000000015CC8: BF800000
	v_cndmask_b32_e64 v52, v216, v52, s[98:99]                 // 000000015CCC: D1000034 018A69D8
	v_add_u32_e32 v197, 1, v196                                // 000000015CD4: 698B8881
	v_cmp_lt_u32_e64 s[98:99], v197, v214                      // 000000015CD8: D0C90062 0003ADC5
	s_nop 0                                                    // 000000015CE0: BF800000
	v_cndmask_b32_e64 v53, v216, v53, s[98:99]                 // 000000015CE4: D1000035 018A6BD8
	v_add_u32_e32 v197, 2, v196                                // 000000015CEC: 698B8882
	v_cmp_lt_u32_e64 s[98:99], v197, v214                      // 000000015CF0: D0C90062 0003ADC5
	s_nop 0                                                    // 000000015CF8: BF800000
	v_cndmask_b32_e64 v54, v216, v54, s[98:99]                 // 000000015CFC: D1000036 018A6DD8
	v_add_u32_e32 v197, 3, v196                                // 000000015D04: 698B8883
	v_cmp_lt_u32_e64 s[98:99], v197, v214                      // 000000015D08: D0C90062 0003ADC5
	s_nop 0                                                    // 000000015D10: BF800000
	v_cndmask_b32_e64 v55, v216, v55, s[98:99]                 // 000000015D14: D1000037 018A6FD8
	v_add_u32_e32 v197, 64, v196                               // 000000015D1C: 698B88C0
	v_cmp_lt_u32_e64 s[98:99], v197, v214                      // 000000015D20: D0C90062 0003ADC5
	s_nop 0                                                    // 000000015D28: BF800000
	v_cndmask_b32_e64 v56, v216, v56, s[98:99]                 // 000000015D2C: D1000038 018A71D8
	v_add_u32_e32 v197, 0x41, v196                             // 000000015D34: 698B88FF 00000041
	v_cmp_lt_u32_e64 s[98:99], v197, v214                      // 000000015D3C: D0C90062 0003ADC5
	s_nop 0                                                    // 000000015D44: BF800000
	v_cndmask_b32_e64 v57, v216, v57, s[98:99]                 // 000000015D48: D1000039 018A73D8
	v_add_u32_e32 v197, 0x42, v196                             // 000000015D50: 698B88FF 00000042
	v_cmp_lt_u32_e64 s[98:99], v197, v214                      // 000000015D58: D0C90062 0003ADC5
	s_nop 0                                                    // 000000015D60: BF800000
	v_cndmask_b32_e64 v58, v216, v58, s[98:99]                 // 000000015D64: D100003A 018A75D8
	v_add_u32_e32 v197, 0x43, v196                             // 000000015D6C: 698B88FF 00000043
	v_cmp_lt_u32_e64 s[98:99], v197, v214                      // 000000015D74: D0C90062 0003ADC5
	s_nop 0                                                    // 000000015D7C: BF800000
	v_cndmask_b32_e64 v59, v216, v59, s[98:99]                 // 000000015D80: D100003B 018A77D8
	v_add_u32_e32 v197, 0x80, v196                             // 000000015D88: 698B88FF 00000080
	v_cmp_lt_u32_e64 s[98:99], v197, v214                      // 000000015D90: D0C90062 0003ADC5
	s_nop 0                                                    // 000000015D98: BF800000
	v_cndmask_b32_e64 v60, v216, v60, s[98:99]                 // 000000015D9C: D100003C 018A79D8
	v_add_u32_e32 v197, 0x81, v196                             // 000000015DA4: 698B88FF 00000081
	v_cmp_lt_u32_e64 s[98:99], v197, v214                      // 000000015DAC: D0C90062 0003ADC5
	s_nop 0                                                    // 000000015DB4: BF800000
	v_cndmask_b32_e64 v61, v216, v61, s[98:99]                 // 000000015DB8: D100003D 018A7BD8
	v_add_u32_e32 v197, 0x82, v196                             // 000000015DC0: 698B88FF 00000082
	v_cmp_lt_u32_e64 s[98:99], v197, v214                      // 000000015DC8: D0C90062 0003ADC5
	s_nop 0                                                    // 000000015DD0: BF800000
	v_cndmask_b32_e64 v62, v216, v62, s[98:99]                 // 000000015DD4: D100003E 018A7DD8
	v_add_u32_e32 v197, 0x83, v196                             // 000000015DDC: 698B88FF 00000083
	v_cmp_lt_u32_e64 s[98:99], v197, v214                      // 000000015DE4: D0C90062 0003ADC5
	s_nop 0                                                    // 000000015DEC: BF800000
	v_cndmask_b32_e64 v63, v216, v63, s[98:99]                 // 000000015DF0: D100003F 018A7FD8
	v_add_u32_e32 v197, 0xc0, v196                             // 000000015DF8: 698B88FF 000000C0
	v_cmp_lt_u32_e64 s[98:99], v197, v214                      // 000000015E00: D0C90062 0003ADC5
	s_nop 0                                                    // 000000015E08: BF800000
	v_cndmask_b32_e64 v64, v216, v64, s[98:99]                 // 000000015E0C: D1000040 018A81D8
	v_add_u32_e32 v197, 0xc1, v196                             // 000000015E14: 698B88FF 000000C1
	v_cmp_lt_u32_e64 s[98:99], v197, v214                      // 000000015E1C: D0C90062 0003ADC5
	s_nop 0                                                    // 000000015E24: BF800000
	v_cndmask_b32_e64 v65, v216, v65, s[98:99]                 // 000000015E28: D1000041 018A83D8
	v_add_u32_e32 v197, 0xc2, v196                             // 000000015E30: 698B88FF 000000C2
	v_cmp_lt_u32_e64 s[98:99], v197, v214                      // 000000015E38: D0C90062 0003ADC5
	s_nop 0                                                    // 000000015E40: BF800000
	v_cndmask_b32_e64 v66, v216, v66, s[98:99]                 // 000000015E44: D1000042 018A85D8
	v_add_u32_e32 v197, 0xc3, v196                             // 000000015E4C: 698B88FF 000000C3
	v_cmp_lt_u32_e64 s[98:99], v197, v214                      // 000000015E54: D0C90062 0003ADC5
	s_nop 0                                                    // 000000015E5C: BF800000
	v_cndmask_b32_e64 v67, v216, v67, s[98:99]                 // 000000015E60: D1000043 018A87D8
	v_mov_b32_e32 v176, v4                                     // 000000015E68: 7F600304
	v_max3_f32 v176, v4, v5, v176                              // 000000015E6C: D1D300B0 06C20B04
	v_max3_f32 v176, v6, v7, v176                              // 000000015E74: D1D300B0 06C20F06
	v_max3_f32 v176, v8, v9, v176                              // 000000015E7C: D1D300B0 06C21308
	v_max3_f32 v176, v10, v11, v176                            // 000000015E84: D1D300B0 06C2170A
	v_max3_f32 v176, v12, v13, v176                            // 000000015E8C: D1D300B0 06C21B0C
	v_max3_f32 v176, v14, v15, v176                            // 000000015E94: D1D300B0 06C21F0E
	v_max3_f32 v176, v16, v17, v176                            // 000000015E9C: D1D300B0 06C22310
	v_max3_f32 v176, v18, v19, v176                            // 000000015EA4: D1D300B0 06C22712
	v_mov_b32_e32 v177, v20                                    // 000000015EAC: 7F620314
	v_max3_f32 v177, v20, v21, v177                            // 000000015EB0: D1D300B1 06C62B14
	v_max3_f32 v177, v22, v23, v177                            // 000000015EB8: D1D300B1 06C62F16
	v_max3_f32 v177, v24, v25, v177                            // 000000015EC0: D1D300B1 06C63318
	v_max3_f32 v177, v26, v27, v177                            // 000000015EC8: D1D300B1 06C6371A
	v_max3_f32 v177, v28, v29, v177                            // 000000015ED0: D1D300B1 06C63B1C
	v_max3_f32 v177, v30, v31, v177                            // 000000015ED8: D1D300B1 06C63F1E
	v_max3_f32 v177, v32, v33, v177                            // 000000015EE0: D1D300B1 06C64320
	v_max3_f32 v177, v34, v35, v177                            // 000000015EE8: D1D300B1 06C64722
	v_mov_b32_e32 v178, v36                                    // 000000015EF0: 7F640324
	v_max3_f32 v178, v36, v37, v178                            // 000000015EF4: D1D300B2 06CA4B24
	v_max3_f32 v178, v38, v39, v178                            // 000000015EFC: D1D300B2 06CA4F26
	v_max3_f32 v178, v40, v41, v178                            // 000000015F04: D1D300B2 06CA5328
	v_max3_f32 v178, v42, v43, v178                            // 000000015F0C: D1D300B2 06CA572A
	v_max3_f32 v178, v44, v45, v178                            // 000000015F14: D1D300B2 06CA5B2C
	v_max3_f32 v178, v46, v47, v178                            // 000000015F1C: D1D300B2 06CA5F2E
	v_max3_f32 v178, v48, v49, v178                            // 000000015F24: D1D300B2 06CA6330
	v_max3_f32 v178, v50, v51, v178                            // 000000015F2C: D1D300B2 06CA6732
	v_mov_b32_e32 v179, v52                                    // 000000015F34: 7F660334
	v_max3_f32 v179, v52, v53, v179                            // 000000015F38: D1D300B3 06CE6B34
	v_max3_f32 v179, v54, v55, v179                            // 000000015F40: D1D300B3 06CE6F36
	v_max3_f32 v179, v56, v57, v179                            // 000000015F48: D1D300B3 06CE7338
	v_max3_f32 v179, v58, v59, v179                            // 000000015F50: D1D300B3 06CE773A
	v_max3_f32 v179, v60, v61, v179                            // 000000015F58: D1D300B3 06CE7B3C
	v_max3_f32 v179, v62, v63, v179                            // 000000015F60: D1D300B3 06CE7F3E
	v_max3_f32 v179, v64, v65, v179                            // 000000015F68: D1D300B3 06CE8340
	v_max3_f32 v179, v66, v67, v179                            // 000000015F70: D1D300B3 06CE8742
	ds_bpermute_b32 v180, v200, v176                           // 000000015F78: D87E0000 B400B0C8
	ds_bpermute_b32 v181, v201, v176                           // 000000015F80: D87E0000 B500B0C9
	ds_bpermute_b32 v182, v202, v176                           // 000000015F88: D87E0000 B600B0CA
	ds_bpermute_b32 v183, v200, v177                           // 000000015F90: D87E0000 B700B1C8
	ds_bpermute_b32 v184, v201, v177                           // 000000015F98: D87E0000 B800B1C9
	ds_bpermute_b32 v185, v202, v177                           // 000000015FA0: D87E0000 B900B1CA
	ds_bpermute_b32 v186, v200, v178                           // 000000015FA8: D87E0000 BA00B2C8
	ds_bpermute_b32 v187, v201, v178                           // 000000015FB0: D87E0000 BB00B2C9
	ds_bpermute_b32 v188, v202, v178                           // 000000015FB8: D87E0000 BC00B2CA
	ds_bpermute_b32 v189, v200, v179                           // 000000015FC0: D87E0000 BD00B3C8
	ds_bpermute_b32 v190, v201, v179                           // 000000015FC8: D87E0000 BE00B3C9
	ds_bpermute_b32 v191, v202, v179                           // 000000015FD0: D87E0000 BF00B3CA
	v_pk_mul_f32 v[100:101], v[160:161], v[100:101]            // 000000015FD8: D3B14064 1802C9A0
	v_pk_mul_f32 v[102:103], v[160:161], v[102:103]            // 000000015FE0: D3B14066 1802CDA0
	v_pk_mul_f32 v[104:105], v[160:161], v[104:105]            // 000000015FE8: D3B14068 1802D1A0
	v_pk_mul_f32 v[106:107], v[160:161], v[106:107]            // 000000015FF0: D3B1406A 1802D5A0
	v_pk_mul_f32 v[108:109], v[162:163], v[108:109]            // 000000015FF8: D3B1406C 1802D9A2
	v_pk_mul_f32 v[110:111], v[162:163], v[110:111]            // 000000016000: D3B1406E 1802DDA2
	v_pk_mul_f32 v[112:113], v[162:163], v[112:113]            // 000000016008: D3B14070 1802E1A2
	v_pk_mul_f32 v[114:115], v[162:163], v[114:115]            // 000000016010: D3B14072 1802E5A2
	v_pk_mul_f32 v[116:117], v[164:165], v[116:117]            // 000000016018: D3B14074 1802E9A4
	v_pk_mul_f32 v[118:119], v[164:165], v[118:119]            // 000000016020: D3B14076 1802EDA4
	v_pk_mul_f32 v[120:121], v[164:165], v[120:121]            // 000000016028: D3B14078 1802F1A4
	v_pk_mul_f32 v[122:123], v[164:165], v[122:123]            // 000000016030: D3B1407A 1802F5A4
	v_pk_mul_f32 v[124:125], v[166:167], v[124:125]            // 000000016038: D3B1407C 1802F9A6
	v_pk_mul_f32 v[126:127], v[166:167], v[126:127]            // 000000016040: D3B1407E 1802FDA6
	v_pk_mul_f32 v[128:129], v[166:167], v[128:129]            // 000000016048: D3B14080 180301A6
	v_pk_mul_f32 v[130:131], v[166:167], v[130:131]            // 000000016050: D3B14082 180305A6
	s_waitcnt lgkmcnt(9)                                       // 000000016058: BF8CC97F
	v_max3_f32 v176, v180, v181, v176                          // 00000001605C: D1D300B0 06C36BB4
	v_max_f32_e32 v176, v182, v176                             // 000000016064: 176161B6
	s_waitcnt lgkmcnt(6)                                       // 000000016068: BF8CC67F
	v_max3_f32 v177, v183, v184, v177                          // 00000001606C: D1D300B1 06C771B7
	v_max_f32_e32 v177, v185, v177                             // 000000016074: 176363B9
	s_waitcnt lgkmcnt(3)                                       // 000000016078: BF8CC37F
	v_max3_f32 v178, v186, v187, v178                          // 00000001607C: D1D300B2 06CB77BA
	v_max_f32_e32 v178, v188, v178                             // 000000016084: 176565BC
	s_waitcnt lgkmcnt(0)                                       // 000000016088: BF8CC07F
	v_max3_f32 v179, v189, v190, v179                          // 00000001608C: D1D300B3 06CF7DBD
	v_max_f32_e32 v179, v191, v179                             // 000000016094: 176767BF
	ds_write_b128 v247, v[176:179]                             // 000000016098: D9BE0000 0000B0F7
	s_waitcnt lgkmcnt(0)                                       // 0000000160A0: BF8CC07F
	s_barrier                                                  // 0000000160A4: BF8A0000
	ds_read_b128 v[180:183], v248                              // 0000000160A8: D9FE0000 B40000F8
	ds_read_b128 v[184:187], v248 offset:256                   // 0000000160B0: D9FE0100 B80000F8
	ds_read_b128 v[188:191], v248 offset:512                   // 0000000160B8: D9FE0200 BC0000F8
	ds_read_b128 v[192:195], v248 offset:768                   // 0000000160C0: D9FE0300 C00000F8
	v_pk_mul_f32 v[68:69], v[144:145], v[68:69]                // 0000000160C8: D3B14044 18028990
	v_pk_mul_f32 v[70:71], v[144:145], v[70:71]                // 0000000160D0: D3B14046 18028D90
	v_pk_mul_f32 v[72:73], v[144:145], v[72:73]                // 0000000160D8: D3B14048 18029190
	v_pk_mul_f32 v[74:75], v[144:145], v[74:75]                // 0000000160E0: D3B1404A 18029590
	v_pk_mul_f32 v[76:77], v[146:147], v[76:77]                // 0000000160E8: D3B1404C 18029992
	v_pk_mul_f32 v[78:79], v[146:147], v[78:79]                // 0000000160F0: D3B1404E 18029D92
	v_pk_mul_f32 v[80:81], v[146:147], v[80:81]                // 0000000160F8: D3B14050 1802A192
	v_pk_mul_f32 v[82:83], v[146:147], v[82:83]                // 000000016100: D3B14052 1802A592
	v_pk_mul_f32 v[84:85], v[148:149], v[84:85]                // 000000016108: D3B14054 1802A994
	v_pk_mul_f32 v[86:87], v[148:149], v[86:87]                // 000000016110: D3B14056 1802AD94
	v_pk_mul_f32 v[88:89], v[148:149], v[88:89]                // 000000016118: D3B14058 1802B194
	v_pk_mul_f32 v[90:91], v[148:149], v[90:91]                // 000000016120: D3B1405A 1802B594
	v_pk_mul_f32 v[92:93], v[150:151], v[92:93]                // 000000016128: D3B1405C 1802B996
	v_pk_mul_f32 v[94:95], v[150:151], v[94:95]                // 000000016130: D3B1405E 1802BD96
	v_pk_mul_f32 v[96:97], v[150:151], v[96:97]                // 000000016138: D3B14060 1802C196
	v_pk_mul_f32 v[98:99], v[150:151], v[98:99]                // 000000016140: D3B14062 1802C596
	s_waitcnt lgkmcnt(0)                                       // 000000016148: BF8CC07F
	v_max3_f32 v176, v180, v184, v176                          // 00000001614C: D1D300B0 06C371B4
	v_max3_f32 v177, v181, v185, v177                          // 000000016154: D1D300B1 06C773B5
	v_max3_f32 v178, v182, v186, v178                          // 00000001615C: D1D300B2 06CB75B6
	v_max3_f32 v179, v183, v187, v179                          // 000000016164: D1D300B3 06CF77B7
	v_max3_f32 v176, v188, v192, v176                          // 00000001616C: D1D300B0 06C381BC
	v_max3_f32 v177, v189, v193, v177                          // 000000016174: D1D300B1 06C783BD
	v_max3_f32 v178, v190, v194, v178                          // 00000001617C: D1D300B2 06CB85BE
	v_max3_f32 v179, v191, v195, v179                          // 000000016184: D1D300B3 06CF87BF
	v_max_f32_e32 v156, v176, v152                             // 00000001618C: 173931B0
	v_mul_f32_e64 v196, -s46, v156                             // 000000016190: D10500C4 2003382E
	v_mov_b32_e32 v197, v196                                   // 000000016198: 7F8A03C4
	v_pk_fma_f32 v[4:5], v[4:5], s[46:47], v[196:197]          // 00000001619C: D3B04004 1F105D04
	v_pk_fma_f32 v[6:7], v[6:7], s[46:47], v[196:197]          // 0000000161A4: D3B04006 1F105D06
	v_exp_f32_e32 v4, v4                                       // 0000000161AC: 7E084104
	v_exp_f32_e32 v5, v5                                       // 0000000161B0: 7E0A4105
	v_exp_f32_e32 v6, v6                                       // 0000000161B4: 7E0C4106
	v_exp_f32_e32 v7, v7                                       // 0000000161B8: 7E0E4107
	v_pk_fma_f32 v[8:9], v[8:9], s[46:47], v[196:197]          // 0000000161BC: D3B04008 1F105D08
	v_pk_fma_f32 v[10:11], v[10:11], s[46:47], v[196:197]      // 0000000161C4: D3B0400A 1F105D0A
	v_exp_f32_e32 v8, v8                                       // 0000000161CC: 7E104108
	v_exp_f32_e32 v9, v9                                       // 0000000161D0: 7E124109
	v_exp_f32_e32 v10, v10                                     // 0000000161D4: 7E14410A
	v_exp_f32_e32 v11, v11                                     // 0000000161D8: 7E16410B
	v_pk_fma_f32 v[12:13], v[12:13], s[46:47], v[196:197]      // 0000000161DC: D3B0400C 1F105D0C
	v_pk_fma_f32 v[14:15], v[14:15], s[46:47], v[196:197]      // 0000000161E4: D3B0400E 1F105D0E
	v_exp_f32_e32 v12, v12                                     // 0000000161EC: 7E18410C
	v_exp_f32_e32 v13, v13                                     // 0000000161F0: 7E1A410D
	v_exp_f32_e32 v14, v14                                     // 0000000161F4: 7E1C410E
	v_exp_f32_e32 v15, v15                                     // 0000000161F8: 7E1E410F
	v_pk_fma_f32 v[16:17], v[16:17], s[46:47], v[196:197]      // 0000000161FC: D3B04010 1F105D10
	v_pk_fma_f32 v[18:19], v[18:19], s[46:47], v[196:197]      // 000000016204: D3B04012 1F105D12
	v_exp_f32_e32 v16, v16                                     // 00000001620C: 7E204110
	v_exp_f32_e32 v17, v17                                     // 000000016210: 7E224111
	v_exp_f32_e32 v18, v18                                     // 000000016214: 7E244112
	v_exp_f32_e32 v19, v19                                     // 000000016218: 7E264113
	v_max_f32_e32 v157, v177, v153                             // 00000001621C: 173B33B1
	v_mul_f32_e64 v196, -s46, v157                             // 000000016220: D10500C4 20033A2E
	v_mov_b32_e32 v197, v196                                   // 000000016228: 7F8A03C4
	v_pk_fma_f32 v[20:21], v[20:21], s[46:47], v[196:197]      // 00000001622C: D3B04014 1F105D14
	v_pk_fma_f32 v[22:23], v[22:23], s[46:47], v[196:197]      // 000000016234: D3B04016 1F105D16
	v_exp_f32_e32 v20, v20                                     // 00000001623C: 7E284114
	v_exp_f32_e32 v21, v21                                     // 000000016240: 7E2A4115
	v_exp_f32_e32 v22, v22                                     // 000000016244: 7E2C4116
	v_exp_f32_e32 v23, v23                                     // 000000016248: 7E2E4117
	v_pk_fma_f32 v[24:25], v[24:25], s[46:47], v[196:197]      // 00000001624C: D3B04018 1F105D18
	v_pk_fma_f32 v[26:27], v[26:27], s[46:47], v[196:197]      // 000000016254: D3B0401A 1F105D1A
	v_exp_f32_e32 v24, v24                                     // 00000001625C: 7E304118
	v_exp_f32_e32 v25, v25                                     // 000000016260: 7E324119
	v_exp_f32_e32 v26, v26                                     // 000000016264: 7E34411A
	v_exp_f32_e32 v27, v27                                     // 000000016268: 7E36411B
	v_pk_fma_f32 v[28:29], v[28:29], s[46:47], v[196:197]      // 00000001626C: D3B0401C 1F105D1C
	v_pk_fma_f32 v[30:31], v[30:31], s[46:47], v[196:197]      // 000000016274: D3B0401E 1F105D1E
	v_exp_f32_e32 v28, v28                                     // 00000001627C: 7E38411C
	v_exp_f32_e32 v29, v29                                     // 000000016280: 7E3A411D
	v_exp_f32_e32 v30, v30                                     // 000000016284: 7E3C411E
	v_exp_f32_e32 v31, v31                                     // 000000016288: 7E3E411F
	v_pk_fma_f32 v[32:33], v[32:33], s[46:47], v[196:197]      // 00000001628C: D3B04020 1F105D20
	v_pk_fma_f32 v[34:35], v[34:35], s[46:47], v[196:197]      // 000000016294: D3B04022 1F105D22
	v_exp_f32_e32 v32, v32                                     // 00000001629C: 7E404120
	v_exp_f32_e32 v33, v33                                     // 0000000162A0: 7E424121
	v_exp_f32_e32 v34, v34                                     // 0000000162A4: 7E444122
	v_exp_f32_e32 v35, v35                                     // 0000000162A8: 7E464123
	v_max_f32_e32 v158, v178, v154                             // 0000000162AC: 173D35B2
	v_mul_f32_e64 v196, -s46, v158                             // 0000000162B0: D10500C4 20033C2E
	v_mov_b32_e32 v197, v196                                   // 0000000162B8: 7F8A03C4
	v_pk_fma_f32 v[36:37], v[36:37], s[46:47], v[196:197]      // 0000000162BC: D3B04024 1F105D24
	v_pk_fma_f32 v[38:39], v[38:39], s[46:47], v[196:197]      // 0000000162C4: D3B04026 1F105D26
	v_exp_f32_e32 v36, v36                                     // 0000000162CC: 7E484124
	v_exp_f32_e32 v37, v37                                     // 0000000162D0: 7E4A4125
	v_exp_f32_e32 v38, v38                                     // 0000000162D4: 7E4C4126
	v_exp_f32_e32 v39, v39                                     // 0000000162D8: 7E4E4127
	v_pk_fma_f32 v[40:41], v[40:41], s[46:47], v[196:197]      // 0000000162DC: D3B04028 1F105D28
	v_pk_fma_f32 v[42:43], v[42:43], s[46:47], v[196:197]      // 0000000162E4: D3B0402A 1F105D2A
	v_exp_f32_e32 v40, v40                                     // 0000000162EC: 7E504128
	v_exp_f32_e32 v41, v41                                     // 0000000162F0: 7E524129
	v_exp_f32_e32 v42, v42                                     // 0000000162F4: 7E54412A
	v_exp_f32_e32 v43, v43                                     // 0000000162F8: 7E56412B
	v_pk_fma_f32 v[44:45], v[44:45], s[46:47], v[196:197]      // 0000000162FC: D3B0402C 1F105D2C
	v_pk_fma_f32 v[46:47], v[46:47], s[46:47], v[196:197]      // 000000016304: D3B0402E 1F105D2E
	v_exp_f32_e32 v44, v44                                     // 00000001630C: 7E58412C
	v_exp_f32_e32 v45, v45                                     // 000000016310: 7E5A412D
	v_exp_f32_e32 v46, v46                                     // 000000016314: 7E5C412E
	v_exp_f32_e32 v47, v47                                     // 000000016318: 7E5E412F
	v_pk_fma_f32 v[48:49], v[48:49], s[46:47], v[196:197]      // 00000001631C: D3B04030 1F105D30
	v_pk_fma_f32 v[50:51], v[50:51], s[46:47], v[196:197]      // 000000016324: D3B04032 1F105D32
	v_exp_f32_e32 v48, v48                                     // 00000001632C: 7E604130
	v_exp_f32_e32 v49, v49                                     // 000000016330: 7E624131
	v_exp_f32_e32 v50, v50                                     // 000000016334: 7E644132
	v_exp_f32_e32 v51, v51                                     // 000000016338: 7E664133
	v_max_f32_e32 v159, v179, v155                             // 00000001633C: 173F37B3
	v_mul_f32_e64 v196, -s46, v159                             // 000000016340: D10500C4 20033E2E
	v_mov_b32_e32 v197, v196                                   // 000000016348: 7F8A03C4
	v_pk_fma_f32 v[52:53], v[52:53], s[46:47], v[196:197]      // 00000001634C: D3B04034 1F105D34
	v_pk_fma_f32 v[54:55], v[54:55], s[46:47], v[196:197]      // 000000016354: D3B04036 1F105D36
	v_exp_f32_e32 v52, v52                                     // 00000001635C: 7E684134
	v_exp_f32_e32 v53, v53                                     // 000000016360: 7E6A4135
	v_exp_f32_e32 v54, v54                                     // 000000016364: 7E6C4136
	v_exp_f32_e32 v55, v55                                     // 000000016368: 7E6E4137
	v_pk_fma_f32 v[56:57], v[56:57], s[46:47], v[196:197]      // 00000001636C: D3B04038 1F105D38
	v_pk_fma_f32 v[58:59], v[58:59], s[46:47], v[196:197]      // 000000016374: D3B0403A 1F105D3A
	v_exp_f32_e32 v56, v56                                     // 00000001637C: 7E704138
	v_exp_f32_e32 v57, v57                                     // 000000016380: 7E724139
	v_exp_f32_e32 v58, v58                                     // 000000016384: 7E74413A
	v_exp_f32_e32 v59, v59                                     // 000000016388: 7E76413B
	v_pk_fma_f32 v[60:61], v[60:61], s[46:47], v[196:197]      // 00000001638C: D3B0403C 1F105D3C
	v_pk_fma_f32 v[62:63], v[62:63], s[46:47], v[196:197]      // 000000016394: D3B0403E 1F105D3E
	v_exp_f32_e32 v60, v60                                     // 00000001639C: 7E78413C
	v_exp_f32_e32 v61, v61                                     // 0000000163A0: 7E7A413D
	v_exp_f32_e32 v62, v62                                     // 0000000163A4: 7E7C413E
	v_exp_f32_e32 v63, v63                                     // 0000000163A8: 7E7E413F
	v_pk_fma_f32 v[64:65], v[64:65], s[46:47], v[196:197]      // 0000000163AC: D3B04040 1F105D40
	v_pk_fma_f32 v[66:67], v[66:67], s[46:47], v[196:197]      // 0000000163B4: D3B04042 1F105D42
	v_exp_f32_e32 v64, v64                                     // 0000000163BC: 7E804140
	v_exp_f32_e32 v65, v65                                     // 0000000163C0: 7E824141
	v_exp_f32_e32 v66, v66                                     // 0000000163C4: 7E844142
	v_exp_f32_e32 v67, v67                                     // 0000000163C8: 7E864143
	v_sub_f32_e32 v160, v152, v156                             // 0000000163CC: 05413998
	v_cmp_eq_u32_e64 s[98:99], v216, v152                      // 0000000163D0: D0CA0062 000331D8
	v_cndmask_b32_e64 v160, v160, 0, s[98:99]                  // 0000000163D8: D10000A0 018901A0
	v_mov_b32_e32 v152, v156                                   // 0000000163E0: 7F30039C
	v_mul_f32_e32 v160, s46, v160                              // 0000000163E4: 0B41402E
	v_exp_f32_e32 v160, v160                                   // 0000000163E8: 7F4041A0
	v_sub_f32_e32 v162, v153, v157                             // 0000000163EC: 05453B99
	v_cmp_eq_u32_e64 s[98:99], v216, v153                      // 0000000163F0: D0CA0062 000333D8
	v_cndmask_b32_e64 v162, v162, 0, s[98:99]                  // 0000000163F8: D10000A2 018901A2
	v_mov_b32_e32 v153, v157                                   // 000000016400: 7F32039D
	v_mul_f32_e32 v162, s46, v162                              // 000000016404: 0B45442E
	v_exp_f32_e32 v162, v162                                   // 000000016408: 7F4441A2
	v_sub_f32_e32 v164, v154, v158                             // 00000001640C: 05493D9A
	v_cmp_eq_u32_e64 s[98:99], v216, v154                      // 000000016410: D0CA0062 000335D8
	v_cndmask_b32_e64 v164, v164, 0, s[98:99]                  // 000000016418: D10000A4 018901A4
	v_mov_b32_e32 v154, v158                                   // 000000016420: 7F34039E
	v_mul_f32_e32 v164, s46, v164                              // 000000016424: 0B49482E
	v_exp_f32_e32 v164, v164                                   // 000000016428: 7F4841A4
	v_sub_f32_e32 v166, v155, v159                             // 00000001642C: 054D3F9B
	v_cmp_eq_u32_e64 s[98:99], v216, v155                      // 000000016430: D0CA0062 000337D8
	v_cndmask_b32_e64 v166, v166, 0, s[98:99]                  // 000000016438: D10000A6 018901A6
	v_mov_b32_e32 v155, v159                                   // 000000016440: 7F36039F
	v_mul_f32_e32 v166, s46, v166                              // 000000016444: 0B4D4C2E
	v_exp_f32_e32 v166, v166                                   // 000000016448: 7F4C41A6
	v_mov_b32_e32 v161, v160                                   // 00000001644C: 7F4203A0
	v_mov_b32_e32 v163, v162                                   // 000000016450: 7F4603A2
	v_mov_b32_e32 v165, v164                                   // 000000016454: 7F4A03A4
	v_mov_b32_e32 v167, v166                                   // 000000016458: 7F4E03A6
	v_mul_f32_e32 v168, v160, v168                             // 00000001645C: 0B5151A0
	v_mov_b32_e32 v169, 0                                      // 000000016460: 7F520280
	v_pk_add_f32 v[168:169], v[4:5], v[168:169]                // 000000016464: D3B240A8 18035104
	v_pk_add_f32 v[168:169], v[6:7], v[168:169]                // 00000001646C: D3B240A8 18035106
	v_pk_add_f32 v[168:169], v[8:9], v[168:169]                // 000000016474: D3B240A8 18035108
	v_pk_add_f32 v[168:169], v[10:11], v[168:169]              // 00000001647C: D3B240A8 1803510A
	v_pk_add_f32 v[168:169], v[12:13], v[168:169]              // 000000016484: D3B240A8 1803510C
	v_pk_add_f32 v[168:169], v[14:15], v[168:169]              // 00000001648C: D3B240A8 1803510E
	v_pk_add_f32 v[168:169], v[16:17], v[168:169]              // 000000016494: D3B240A8 18035110
	v_pk_add_f32 v[168:169], v[18:19], v[168:169]              // 00000001649C: D3B240A8 18035112
	v_add_f32_e32 v168, v169, v168                             // 0000000164A4: 035151A9
	v_mul_f32_e32 v170, v162, v170                             // 0000000164A8: 0B5555A2
	v_mov_b32_e32 v171, 0                                      // 0000000164AC: 7F560280
	v_pk_add_f32 v[170:171], v[20:21], v[170:171]              // 0000000164B0: D3B240AA 18035514
	v_pk_add_f32 v[170:171], v[22:23], v[170:171]              // 0000000164B8: D3B240AA 18035516
	v_pk_add_f32 v[170:171], v[24:25], v[170:171]              // 0000000164C0: D3B240AA 18035518
	v_pk_add_f32 v[170:171], v[26:27], v[170:171]              // 0000000164C8: D3B240AA 1803551A
	v_pk_add_f32 v[170:171], v[28:29], v[170:171]              // 0000000164D0: D3B240AA 1803551C
	v_pk_add_f32 v[170:171], v[30:31], v[170:171]              // 0000000164D8: D3B240AA 1803551E
	v_pk_add_f32 v[170:171], v[32:33], v[170:171]              // 0000000164E0: D3B240AA 18035520
	v_pk_add_f32 v[170:171], v[34:35], v[170:171]              // 0000000164E8: D3B240AA 18035522
	v_add_f32_e32 v170, v171, v170                             // 0000000164F0: 035555AB
	v_mul_f32_e32 v172, v164, v172                             // 0000000164F4: 0B5959A4
	v_mov_b32_e32 v173, 0                                      // 0000000164F8: 7F5A0280
	v_pk_add_f32 v[172:173], v[36:37], v[172:173]              // 0000000164FC: D3B240AC 18035924
	v_pk_add_f32 v[172:173], v[38:39], v[172:173]              // 000000016504: D3B240AC 18035926
	v_pk_add_f32 v[172:173], v[40:41], v[172:173]              // 00000001650C: D3B240AC 18035928
	v_pk_add_f32 v[172:173], v[42:43], v[172:173]              // 000000016514: D3B240AC 1803592A
	v_pk_add_f32 v[172:173], v[44:45], v[172:173]              // 00000001651C: D3B240AC 1803592C
	v_pk_add_f32 v[172:173], v[46:47], v[172:173]              // 000000016524: D3B240AC 1803592E
	v_pk_add_f32 v[172:173], v[48:49], v[172:173]              // 00000001652C: D3B240AC 18035930
	v_pk_add_f32 v[172:173], v[50:51], v[172:173]              // 000000016534: D3B240AC 18035932
	v_add_f32_e32 v172, v173, v172                             // 00000001653C: 035959AD
	v_mul_f32_e32 v174, v166, v174                             // 000000016540: 0B5D5DA6
	v_mov_b32_e32 v175, 0                                      // 000000016544: 7F5E0280
	v_pk_add_f32 v[174:175], v[52:53], v[174:175]              // 000000016548: D3B240AE 18035D34
	v_pk_add_f32 v[174:175], v[54:55], v[174:175]              // 000000016550: D3B240AE 18035D36
	v_pk_add_f32 v[174:175], v[56:57], v[174:175]              // 000000016558: D3B240AE 18035D38
	v_pk_add_f32 v[174:175], v[58:59], v[174:175]              // 000000016560: D3B240AE 18035D3A
	v_pk_add_f32 v[174:175], v[60:61], v[174:175]              // 000000016568: D3B240AE 18035D3C
	v_pk_add_f32 v[174:175], v[62:63], v[174:175]              // 000000016570: D3B240AE 18035D3E
	v_pk_add_f32 v[174:175], v[64:65], v[174:175]              // 000000016578: D3B240AE 18035D40
	v_pk_add_f32 v[174:175], v[66:67], v[174:175]              // 000000016580: D3B240AE 18035D42
	v_add_f32_e32 v174, v175, v174                             // 000000016588: 035D5DAF
	v_mul_f32_dpp v4, v143, v4 row_newbcast:0 row_mask:0xf bank_mask:0xf// 00000001658C: 0A0808FA FF01508F
	v_mul_f32_dpp v5, v143, v5 row_newbcast:1 row_mask:0xf bank_mask:0xf// 000000016594: 0A0A0AFA FF01518F
	v_mul_f32_dpp v6, v143, v6 row_newbcast:2 row_mask:0xf bank_mask:0xf// 00000001659C: 0A0C0CFA FF01528F
	v_mul_f32_dpp v7, v143, v7 row_newbcast:3 row_mask:0xf bank_mask:0xf// 0000000165A4: 0A0E0EFA FF01538F
	v_mul_f32_dpp v8, v143, v8 row_newbcast:4 row_mask:0xf bank_mask:0xf// 0000000165AC: 0A1010FA FF01548F
	v_mul_f32_dpp v9, v143, v9 row_newbcast:5 row_mask:0xf bank_mask:0xf// 0000000165B4: 0A1212FA FF01558F
	v_mul_f32_dpp v10, v143, v10 row_newbcast:6 row_mask:0xf bank_mask:0xf// 0000000165BC: 0A1414FA FF01568F
	v_mul_f32_dpp v11, v143, v11 row_newbcast:7 row_mask:0xf bank_mask:0xf// 0000000165C4: 0A1616FA FF01578F
	v_mul_f32_dpp v12, v143, v12 row_newbcast:8 row_mask:0xf bank_mask:0xf// 0000000165CC: 0A1818FA FF01588F
	v_mul_f32_dpp v13, v143, v13 row_newbcast:9 row_mask:0xf bank_mask:0xf// 0000000165D4: 0A1A1AFA FF01598F
	v_mul_f32_dpp v14, v143, v14 row_newbcast:10 row_mask:0xf bank_mask:0xf// 0000000165DC: 0A1C1CFA FF015A8F
	v_mul_f32_dpp v15, v143, v15 row_newbcast:11 row_mask:0xf bank_mask:0xf// 0000000165E4: 0A1E1EFA FF015B8F
	v_mul_f32_dpp v16, v143, v16 row_newbcast:12 row_mask:0xf bank_mask:0xf// 0000000165EC: 0A2020FA FF015C8F
	v_mul_f32_dpp v17, v143, v17 row_newbcast:13 row_mask:0xf bank_mask:0xf// 0000000165F4: 0A2222FA FF015D8F
	v_mul_f32_dpp v18, v143, v18 row_newbcast:14 row_mask:0xf bank_mask:0xf// 0000000165FC: 0A2424FA FF015E8F
	v_mul_f32_dpp v19, v143, v19 row_newbcast:15 row_mask:0xf bank_mask:0xf// 000000016604: 0A2626FA FF015F8F
	v_mul_f32_dpp v20, v143, v20 row_newbcast:0 row_mask:0xf bank_mask:0xf// 00000001660C: 0A2828FA FF01508F
	v_mul_f32_dpp v21, v143, v21 row_newbcast:1 row_mask:0xf bank_mask:0xf// 000000016614: 0A2A2AFA FF01518F
	v_mul_f32_dpp v22, v143, v22 row_newbcast:2 row_mask:0xf bank_mask:0xf// 00000001661C: 0A2C2CFA FF01528F
	v_mul_f32_dpp v23, v143, v23 row_newbcast:3 row_mask:0xf bank_mask:0xf// 000000016624: 0A2E2EFA FF01538F
	v_mul_f32_dpp v24, v143, v24 row_newbcast:4 row_mask:0xf bank_mask:0xf// 00000001662C: 0A3030FA FF01548F
	v_mul_f32_dpp v25, v143, v25 row_newbcast:5 row_mask:0xf bank_mask:0xf// 000000016634: 0A3232FA FF01558F
	v_mul_f32_dpp v26, v143, v26 row_newbcast:6 row_mask:0xf bank_mask:0xf// 00000001663C: 0A3434FA FF01568F
	v_mul_f32_dpp v27, v143, v27 row_newbcast:7 row_mask:0xf bank_mask:0xf// 000000016644: 0A3636FA FF01578F
	v_mul_f32_dpp v28, v143, v28 row_newbcast:8 row_mask:0xf bank_mask:0xf// 00000001664C: 0A3838FA FF01588F
	v_mul_f32_dpp v29, v143, v29 row_newbcast:9 row_mask:0xf bank_mask:0xf// 000000016654: 0A3A3AFA FF01598F
	v_mul_f32_dpp v30, v143, v30 row_newbcast:10 row_mask:0xf bank_mask:0xf// 00000001665C: 0A3C3CFA FF015A8F
	v_mul_f32_dpp v31, v143, v31 row_newbcast:11 row_mask:0xf bank_mask:0xf// 000000016664: 0A3E3EFA FF015B8F
	v_mul_f32_dpp v32, v143, v32 row_newbcast:12 row_mask:0xf bank_mask:0xf// 00000001666C: 0A4040FA FF015C8F
	v_mul_f32_dpp v33, v143, v33 row_newbcast:13 row_mask:0xf bank_mask:0xf// 000000016674: 0A4242FA FF015D8F
	v_mul_f32_dpp v34, v143, v34 row_newbcast:14 row_mask:0xf bank_mask:0xf// 00000001667C: 0A4444FA FF015E8F
	v_mul_f32_dpp v35, v143, v35 row_newbcast:15 row_mask:0xf bank_mask:0xf// 000000016684: 0A4646FA FF015F8F
	v_mul_f32_dpp v36, v143, v36 row_newbcast:0 row_mask:0xf bank_mask:0xf// 00000001668C: 0A4848FA FF01508F
	v_mul_f32_dpp v37, v143, v37 row_newbcast:1 row_mask:0xf bank_mask:0xf// 000000016694: 0A4A4AFA FF01518F
	v_mul_f32_dpp v38, v143, v38 row_newbcast:2 row_mask:0xf bank_mask:0xf// 00000001669C: 0A4C4CFA FF01528F
	v_mul_f32_dpp v39, v143, v39 row_newbcast:3 row_mask:0xf bank_mask:0xf// 0000000166A4: 0A4E4EFA FF01538F
	v_mul_f32_dpp v40, v143, v40 row_newbcast:4 row_mask:0xf bank_mask:0xf// 0000000166AC: 0A5050FA FF01548F
	v_mul_f32_dpp v41, v143, v41 row_newbcast:5 row_mask:0xf bank_mask:0xf// 0000000166B4: 0A5252FA FF01558F
	v_mul_f32_dpp v42, v143, v42 row_newbcast:6 row_mask:0xf bank_mask:0xf// 0000000166BC: 0A5454FA FF01568F
	v_mul_f32_dpp v43, v143, v43 row_newbcast:7 row_mask:0xf bank_mask:0xf// 0000000166C4: 0A5656FA FF01578F
	v_mul_f32_dpp v44, v143, v44 row_newbcast:8 row_mask:0xf bank_mask:0xf// 0000000166CC: 0A5858FA FF01588F
	v_mul_f32_dpp v45, v143, v45 row_newbcast:9 row_mask:0xf bank_mask:0xf// 0000000166D4: 0A5A5AFA FF01598F
	v_mul_f32_dpp v46, v143, v46 row_newbcast:10 row_mask:0xf bank_mask:0xf// 0000000166DC: 0A5C5CFA FF015A8F
	v_mul_f32_dpp v47, v143, v47 row_newbcast:11 row_mask:0xf bank_mask:0xf// 0000000166E4: 0A5E5EFA FF015B8F
	v_mul_f32_dpp v48, v143, v48 row_newbcast:12 row_mask:0xf bank_mask:0xf// 0000000166EC: 0A6060FA FF015C8F
	v_mul_f32_dpp v49, v143, v49 row_newbcast:13 row_mask:0xf bank_mask:0xf// 0000000166F4: 0A6262FA FF015D8F
	v_mul_f32_dpp v50, v143, v50 row_newbcast:14 row_mask:0xf bank_mask:0xf// 0000000166FC: 0A6464FA FF015E8F
	v_mul_f32_dpp v51, v143, v51 row_newbcast:15 row_mask:0xf bank_mask:0xf// 000000016704: 0A6666FA FF015F8F
	v_mul_f32_dpp v52, v143, v52 row_newbcast:0 row_mask:0xf bank_mask:0xf// 00000001670C: 0A6868FA FF01508F
	v_mul_f32_dpp v53, v143, v53 row_newbcast:1 row_mask:0xf bank_mask:0xf// 000000016714: 0A6A6AFA FF01518F
	v_mul_f32_dpp v54, v143, v54 row_newbcast:2 row_mask:0xf bank_mask:0xf// 00000001671C: 0A6C6CFA FF01528F
	v_mul_f32_dpp v55, v143, v55 row_newbcast:3 row_mask:0xf bank_mask:0xf// 000000016724: 0A6E6EFA FF01538F
	v_mul_f32_dpp v56, v143, v56 row_newbcast:4 row_mask:0xf bank_mask:0xf// 00000001672C: 0A7070FA FF01548F
	v_mul_f32_dpp v57, v143, v57 row_newbcast:5 row_mask:0xf bank_mask:0xf// 000000016734: 0A7272FA FF01558F
	v_mul_f32_dpp v58, v143, v58 row_newbcast:6 row_mask:0xf bank_mask:0xf// 00000001673C: 0A7474FA FF01568F
	v_mul_f32_dpp v59, v143, v59 row_newbcast:7 row_mask:0xf bank_mask:0xf// 000000016744: 0A7676FA FF01578F
	v_mul_f32_dpp v60, v143, v60 row_newbcast:8 row_mask:0xf bank_mask:0xf// 00000001674C: 0A7878FA FF01588F
	v_mul_f32_dpp v61, v143, v61 row_newbcast:9 row_mask:0xf bank_mask:0xf// 000000016754: 0A7A7AFA FF01598F
	v_mul_f32_dpp v62, v143, v62 row_newbcast:10 row_mask:0xf bank_mask:0xf// 00000001675C: 0A7C7CFA FF015A8F
	v_mul_f32_dpp v63, v143, v63 row_newbcast:11 row_mask:0xf bank_mask:0xf// 000000016764: 0A7E7EFA FF015B8F
	v_mul_f32_dpp v64, v143, v64 row_newbcast:12 row_mask:0xf bank_mask:0xf// 00000001676C: 0A8080FA FF015C8F
	v_mul_f32_dpp v65, v143, v65 row_newbcast:13 row_mask:0xf bank_mask:0xf// 000000016774: 0A8282FA FF015D8F
	v_mul_f32_dpp v66, v143, v66 row_newbcast:14 row_mask:0xf bank_mask:0xf// 00000001677C: 0A8484FA FF015E8F
	v_mul_f32_dpp v67, v143, v67 row_newbcast:15 row_mask:0xf bank_mask:0xf// 000000016784: 0A8686FA FF015F8F
	v_add_u32_e32 v196, s64, v215                              // 00000001678C: 6989AE40
	v_add_u32_e32 v197, 0, v196                                // 000000016790: 698B8880
	v_cmp_lt_u32_e32 vcc, v197, v211                           // 000000016794: 7D93A7C5
	v_cndmask_b32_e32 v4, 0, v4, vcc                           // 000000016798: 00080880
	v_cmp_lt_u32_e32 vcc, v197, v212                           // 00000001679C: 7D93A9C5
	v_cndmask_b32_e32 v20, 0, v20, vcc                         // 0000000167A0: 00282880
	v_cmp_lt_u32_e32 vcc, v197, v213                           // 0000000167A4: 7D93ABC5
	v_cndmask_b32_e32 v36, 0, v36, vcc                         // 0000000167A8: 00484880
	v_cmp_lt_u32_e32 vcc, v197, v214                           // 0000000167AC: 7D93ADC5
	v_cndmask_b32_e32 v52, 0, v52, vcc                         // 0000000167B0: 00686880
	v_add_u32_e32 v197, 1, v196                                // 0000000167B4: 698B8881
	v_cmp_lt_u32_e32 vcc, v197, v211                           // 0000000167B8: 7D93A7C5
	v_cndmask_b32_e32 v5, 0, v5, vcc                           // 0000000167BC: 000A0A80
	v_cmp_lt_u32_e32 vcc, v197, v212                           // 0000000167C0: 7D93A9C5
	v_cndmask_b32_e32 v21, 0, v21, vcc                         // 0000000167C4: 002A2A80
	v_cmp_lt_u32_e32 vcc, v197, v213                           // 0000000167C8: 7D93ABC5
	v_cndmask_b32_e32 v37, 0, v37, vcc                         // 0000000167CC: 004A4A80
	v_cmp_lt_u32_e32 vcc, v197, v214                           // 0000000167D0: 7D93ADC5
	v_cndmask_b32_e32 v53, 0, v53, vcc                         // 0000000167D4: 006A6A80
	v_add_u32_e32 v197, 2, v196                                // 0000000167D8: 698B8882
	v_cmp_lt_u32_e32 vcc, v197, v211                           // 0000000167DC: 7D93A7C5
	v_cndmask_b32_e32 v6, 0, v6, vcc                           // 0000000167E0: 000C0C80
	v_cmp_lt_u32_e32 vcc, v197, v212                           // 0000000167E4: 7D93A9C5
	v_cndmask_b32_e32 v22, 0, v22, vcc                         // 0000000167E8: 002C2C80
	v_cmp_lt_u32_e32 vcc, v197, v213                           // 0000000167EC: 7D93ABC5
	v_cndmask_b32_e32 v38, 0, v38, vcc                         // 0000000167F0: 004C4C80
	v_cmp_lt_u32_e32 vcc, v197, v214                           // 0000000167F4: 7D93ADC5
	v_cndmask_b32_e32 v54, 0, v54, vcc                         // 0000000167F8: 006C6C80
	v_add_u32_e32 v197, 3, v196                                // 0000000167FC: 698B8883
	v_cmp_lt_u32_e32 vcc, v197, v211                           // 000000016800: 7D93A7C5
	v_cndmask_b32_e32 v7, 0, v7, vcc                           // 000000016804: 000E0E80
	v_cmp_lt_u32_e32 vcc, v197, v212                           // 000000016808: 7D93A9C5
	v_cndmask_b32_e32 v23, 0, v23, vcc                         // 00000001680C: 002E2E80
	v_cmp_lt_u32_e32 vcc, v197, v213                           // 000000016810: 7D93ABC5
	v_cndmask_b32_e32 v39, 0, v39, vcc                         // 000000016814: 004E4E80
	v_cmp_lt_u32_e32 vcc, v197, v214                           // 000000016818: 7D93ADC5
	v_cndmask_b32_e32 v55, 0, v55, vcc                         // 00000001681C: 006E6E80
	v_add_u32_e32 v197, 64, v196                               // 000000016820: 698B88C0
	v_cmp_lt_u32_e32 vcc, v197, v211                           // 000000016824: 7D93A7C5
	v_cndmask_b32_e32 v8, 0, v8, vcc                           // 000000016828: 00101080
	v_cmp_lt_u32_e32 vcc, v197, v212                           // 00000001682C: 7D93A9C5
	v_cndmask_b32_e32 v24, 0, v24, vcc                         // 000000016830: 00303080
	v_cmp_lt_u32_e32 vcc, v197, v213                           // 000000016834: 7D93ABC5
	v_cndmask_b32_e32 v40, 0, v40, vcc                         // 000000016838: 00505080
	v_cmp_lt_u32_e32 vcc, v197, v214                           // 00000001683C: 7D93ADC5
	v_cndmask_b32_e32 v56, 0, v56, vcc                         // 000000016840: 00707080
	v_add_u32_e32 v197, 0x41, v196                             // 000000016844: 698B88FF 00000041
	v_cmp_lt_u32_e32 vcc, v197, v211                           // 00000001684C: 7D93A7C5
	v_cndmask_b32_e32 v9, 0, v9, vcc                           // 000000016850: 00121280
	v_cmp_lt_u32_e32 vcc, v197, v212                           // 000000016854: 7D93A9C5
	v_cndmask_b32_e32 v25, 0, v25, vcc                         // 000000016858: 00323280
	v_cmp_lt_u32_e32 vcc, v197, v213                           // 00000001685C: 7D93ABC5
	v_cndmask_b32_e32 v41, 0, v41, vcc                         // 000000016860: 00525280
	v_cmp_lt_u32_e32 vcc, v197, v214                           // 000000016864: 7D93ADC5
	v_cndmask_b32_e32 v57, 0, v57, vcc                         // 000000016868: 00727280
	v_add_u32_e32 v197, 0x42, v196                             // 00000001686C: 698B88FF 00000042
	v_cmp_lt_u32_e32 vcc, v197, v211                           // 000000016874: 7D93A7C5
	v_cndmask_b32_e32 v10, 0, v10, vcc                         // 000000016878: 00141480
	v_cmp_lt_u32_e32 vcc, v197, v212                           // 00000001687C: 7D93A9C5
	v_cndmask_b32_e32 v26, 0, v26, vcc                         // 000000016880: 00343480
	v_cmp_lt_u32_e32 vcc, v197, v213                           // 000000016884: 7D93ABC5
	v_cndmask_b32_e32 v42, 0, v42, vcc                         // 000000016888: 00545480
	v_cmp_lt_u32_e32 vcc, v197, v214                           // 00000001688C: 7D93ADC5
	v_cndmask_b32_e32 v58, 0, v58, vcc                         // 000000016890: 00747480
	v_add_u32_e32 v197, 0x43, v196                             // 000000016894: 698B88FF 00000043
	v_cmp_lt_u32_e32 vcc, v197, v211                           // 00000001689C: 7D93A7C5
	v_cndmask_b32_e32 v11, 0, v11, vcc                         // 0000000168A0: 00161680
	v_cmp_lt_u32_e32 vcc, v197, v212                           // 0000000168A4: 7D93A9C5
	v_cndmask_b32_e32 v27, 0, v27, vcc                         // 0000000168A8: 00363680
	v_cmp_lt_u32_e32 vcc, v197, v213                           // 0000000168AC: 7D93ABC5
	v_cndmask_b32_e32 v43, 0, v43, vcc                         // 0000000168B0: 00565680
	v_cmp_lt_u32_e32 vcc, v197, v214                           // 0000000168B4: 7D93ADC5
	v_cndmask_b32_e32 v59, 0, v59, vcc                         // 0000000168B8: 00767680
	v_add_u32_e32 v197, 0x80, v196                             // 0000000168BC: 698B88FF 00000080
	v_cmp_lt_u32_e32 vcc, v197, v211                           // 0000000168C4: 7D93A7C5
	v_cndmask_b32_e32 v12, 0, v12, vcc                         // 0000000168C8: 00181880
	v_cmp_lt_u32_e32 vcc, v197, v212                           // 0000000168CC: 7D93A9C5
	v_cndmask_b32_e32 v28, 0, v28, vcc                         // 0000000168D0: 00383880
	v_cmp_lt_u32_e32 vcc, v197, v213                           // 0000000168D4: 7D93ABC5
	v_cndmask_b32_e32 v44, 0, v44, vcc                         // 0000000168D8: 00585880
	v_cmp_lt_u32_e32 vcc, v197, v214                           // 0000000168DC: 7D93ADC5
	v_cndmask_b32_e32 v60, 0, v60, vcc                         // 0000000168E0: 00787880
	v_add_u32_e32 v197, 0x81, v196                             // 0000000168E4: 698B88FF 00000081
	v_cmp_lt_u32_e32 vcc, v197, v211                           // 0000000168EC: 7D93A7C5
	v_cndmask_b32_e32 v13, 0, v13, vcc                         // 0000000168F0: 001A1A80
	v_cmp_lt_u32_e32 vcc, v197, v212                           // 0000000168F4: 7D93A9C5
	v_cndmask_b32_e32 v29, 0, v29, vcc                         // 0000000168F8: 003A3A80
	v_cmp_lt_u32_e32 vcc, v197, v213                           // 0000000168FC: 7D93ABC5
	v_cndmask_b32_e32 v45, 0, v45, vcc                         // 000000016900: 005A5A80
	v_cmp_lt_u32_e32 vcc, v197, v214                           // 000000016904: 7D93ADC5
	v_cndmask_b32_e32 v61, 0, v61, vcc                         // 000000016908: 007A7A80
	v_add_u32_e32 v197, 0x82, v196                             // 00000001690C: 698B88FF 00000082
	v_cmp_lt_u32_e32 vcc, v197, v211                           // 000000016914: 7D93A7C5
	v_cndmask_b32_e32 v14, 0, v14, vcc                         // 000000016918: 001C1C80
	v_cmp_lt_u32_e32 vcc, v197, v212                           // 00000001691C: 7D93A9C5
	v_cndmask_b32_e32 v30, 0, v30, vcc                         // 000000016920: 003C3C80
	v_cmp_lt_u32_e32 vcc, v197, v213                           // 000000016924: 7D93ABC5
	v_cndmask_b32_e32 v46, 0, v46, vcc                         // 000000016928: 005C5C80
	v_cmp_lt_u32_e32 vcc, v197, v214                           // 00000001692C: 7D93ADC5
	v_cndmask_b32_e32 v62, 0, v62, vcc                         // 000000016930: 007C7C80
	v_add_u32_e32 v197, 0x83, v196                             // 000000016934: 698B88FF 00000083
	v_cmp_lt_u32_e32 vcc, v197, v211                           // 00000001693C: 7D93A7C5
	v_cndmask_b32_e32 v15, 0, v15, vcc                         // 000000016940: 001E1E80
	v_cmp_lt_u32_e32 vcc, v197, v212                           // 000000016944: 7D93A9C5
	v_cndmask_b32_e32 v31, 0, v31, vcc                         // 000000016948: 003E3E80
	v_cmp_lt_u32_e32 vcc, v197, v213                           // 00000001694C: 7D93ABC5
	v_cndmask_b32_e32 v47, 0, v47, vcc                         // 000000016950: 005E5E80
	v_cmp_lt_u32_e32 vcc, v197, v214                           // 000000016954: 7D93ADC5
	v_cndmask_b32_e32 v63, 0, v63, vcc                         // 000000016958: 007E7E80
	v_add_u32_e32 v197, 0xc0, v196                             // 00000001695C: 698B88FF 000000C0
	v_cmp_lt_u32_e32 vcc, v197, v211                           // 000000016964: 7D93A7C5
	v_cndmask_b32_e32 v16, 0, v16, vcc                         // 000000016968: 00202080
	v_cmp_lt_u32_e32 vcc, v197, v212                           // 00000001696C: 7D93A9C5
	v_cndmask_b32_e32 v32, 0, v32, vcc                         // 000000016970: 00404080
	v_cmp_lt_u32_e32 vcc, v197, v213                           // 000000016974: 7D93ABC5
	v_cndmask_b32_e32 v48, 0, v48, vcc                         // 000000016978: 00606080
	v_cmp_lt_u32_e32 vcc, v197, v214                           // 00000001697C: 7D93ADC5
	v_cndmask_b32_e32 v64, 0, v64, vcc                         // 000000016980: 00808080
	v_add_u32_e32 v197, 0xc1, v196                             // 000000016984: 698B88FF 000000C1
	v_cmp_lt_u32_e32 vcc, v197, v211                           // 00000001698C: 7D93A7C5
	v_cndmask_b32_e32 v17, 0, v17, vcc                         // 000000016990: 00222280
	v_cmp_lt_u32_e32 vcc, v197, v212                           // 000000016994: 7D93A9C5
	v_cndmask_b32_e32 v33, 0, v33, vcc                         // 000000016998: 00424280
	v_cmp_lt_u32_e32 vcc, v197, v213                           // 00000001699C: 7D93ABC5
	v_cndmask_b32_e32 v49, 0, v49, vcc                         // 0000000169A0: 00626280
	v_cmp_lt_u32_e32 vcc, v197, v214                           // 0000000169A4: 7D93ADC5
	v_cndmask_b32_e32 v65, 0, v65, vcc                         // 0000000169A8: 00828280
	v_add_u32_e32 v197, 0xc2, v196                             // 0000000169AC: 698B88FF 000000C2
	v_cmp_lt_u32_e32 vcc, v197, v211                           // 0000000169B4: 7D93A7C5
	v_cndmask_b32_e32 v18, 0, v18, vcc                         // 0000000169B8: 00242480
	v_cmp_lt_u32_e32 vcc, v197, v212                           // 0000000169BC: 7D93A9C5
	v_cndmask_b32_e32 v34, 0, v34, vcc                         // 0000000169C0: 00444480
	v_cmp_lt_u32_e32 vcc, v197, v213                           // 0000000169C4: 7D93ABC5
	v_cndmask_b32_e32 v50, 0, v50, vcc                         // 0000000169C8: 00646480
	v_cmp_lt_u32_e32 vcc, v197, v214                           // 0000000169CC: 7D93ADC5
	v_cndmask_b32_e32 v66, 0, v66, vcc                         // 0000000169D0: 00848480
	v_add_u32_e32 v197, 0xc3, v196                             // 0000000169D4: 698B88FF 000000C3
	v_cmp_lt_u32_e32 vcc, v197, v211                           // 0000000169DC: 7D93A7C5
	v_cndmask_b32_e32 v19, 0, v19, vcc                         // 0000000169E0: 00262680
	v_cmp_lt_u32_e32 vcc, v197, v212                           // 0000000169E4: 7D93A9C5
	v_cndmask_b32_e32 v35, 0, v35, vcc                         // 0000000169E8: 00464680
	v_cmp_lt_u32_e32 vcc, v197, v213                           // 0000000169EC: 7D93ABC5
	v_cndmask_b32_e32 v51, 0, v51, vcc                         // 0000000169F0: 00666680
	v_cmp_lt_u32_e32 vcc, v197, v214                           // 0000000169F4: 7D93ADC5
	v_cndmask_b32_e32 v67, 0, v67, vcc                         // 0000000169F8: 00868680
	buffer_load_dword v140, v231, s[20:23], 0 offen            // 0000000169FC: E0501000 80058CE7
	s_waitcnt lgkmcnt(0)                                       // 000000016A04: BF8CC07F
	s_barrier                                                  // 000000016A08: BF8A0000
	buffer_load_dword v142, v232, s[24:27], 0 offen            // 000000016A0C: E0501000 80068EE8
	s_waitcnt lgkmcnt(0)                                       // 000000016A14: BF8CC07F
	v_sub_f32_e32 v176, v176, v152                             // 000000016A18: 056131B0
	v_sub_f32_e32 v177, v177, v153                             // 000000016A1C: 056333B1
	v_sub_f32_e32 v178, v178, v154                             // 000000016A20: 056535B2
	v_sub_f32_e32 v179, v179, v155                             // 000000016A24: 056737B3
	v_mul_f32_e32 v176, s46, v176                              // 000000016A28: 0B61602E
	v_mul_f32_e32 v177, s46, v177                              // 000000016A2C: 0B63622E
	v_mul_f32_e32 v178, s46, v178                              // 000000016A30: 0B65642E
	v_mul_f32_e32 v179, s46, v179                              // 000000016A34: 0B67662E
	v_exp_f32_e32 v176, v176                                   // 000000016A38: 7F6041B0
	v_exp_f32_e32 v177, v177                                   // 000000016A3C: 7F6241B1
	v_exp_f32_e32 v178, v178                                   // 000000016A40: 7F6441B2
	v_exp_f32_e32 v179, v179                                   // 000000016A44: 7F6641B3
	v_mul_f32_e32 v176, v143, v176                             // 000000016A48: 0B61618F
	v_mul_f32_e32 v177, v143, v177                             // 000000016A4C: 0B63638F
	v_mul_f32_e32 v178, v143, v178                             // 000000016A50: 0B65658F
	v_mul_f32_e32 v179, v143, v179                             // 000000016A54: 0B67678F
	v_add_f32_e32 v176, 0x3089705f, v176                       // 000000016A58: 036160FF 3089705F
	v_add_f32_e32 v177, 0x3089705f, v177                       // 000000016A60: 036362FF 3089705F
	v_add_f32_e32 v178, 0x3089705f, v178                       // 000000016A68: 036564FF 3089705F
	v_add_f32_e32 v179, 0x3089705f, v179                       // 000000016A70: 036766FF 3089705F
	v_rcp_f32_e32 v176, v176                                   // 000000016A78: 7F6045B0
	v_rcp_f32_e32 v177, v177                                   // 000000016A7C: 7F6245B1
	v_rcp_f32_e32 v178, v178                                   // 000000016A80: 7F6445B2
	v_rcp_f32_e32 v179, v179                                   // 000000016A84: 7F6645B3
	v_mul_f32_e32 v176, 0x43700000, v176                       // 000000016A88: 0B6160FF 43700000
	v_mul_f32_e32 v177, 0x43700000, v177                       // 000000016A90: 0B6362FF 43700000
	v_mul_f32_e32 v178, 0x43700000, v178                       // 000000016A98: 0B6564FF 43700000
	v_mul_f32_e32 v179, 0x43700000, v179                       // 000000016AA0: 0B6766FF 43700000
	v_mul_f32_e32 v4, v176, v4                                 // 000000016AA8: 0A0809B0
	v_mul_f32_e32 v5, v176, v5                                 // 000000016AAC: 0A0A0BB0
	v_mul_f32_e32 v6, v176, v6                                 // 000000016AB0: 0A0C0DB0
	v_mul_f32_e32 v7, v176, v7                                 // 000000016AB4: 0A0E0FB0
	v_mul_f32_e32 v8, v176, v8                                 // 000000016AB8: 0A1011B0
	v_mul_f32_e32 v9, v176, v9                                 // 000000016ABC: 0A1213B0
	v_mul_f32_e32 v10, v176, v10                               // 000000016AC0: 0A1415B0
	v_mul_f32_e32 v11, v176, v11                               // 000000016AC4: 0A1617B0
	v_mul_f32_e32 v12, v176, v12                               // 000000016AC8: 0A1819B0
	v_mul_f32_e32 v13, v176, v13                               // 000000016ACC: 0A1A1BB0
	v_mul_f32_e32 v14, v176, v14                               // 000000016AD0: 0A1C1DB0
	v_mul_f32_e32 v15, v176, v15                               // 000000016AD4: 0A1E1FB0
	v_mul_f32_e32 v16, v176, v16                               // 000000016AD8: 0A2021B0
	v_mul_f32_e32 v17, v176, v17                               // 000000016ADC: 0A2223B0
	v_mul_f32_e32 v18, v176, v18                               // 000000016AE0: 0A2425B0
	v_mul_f32_e32 v19, v176, v19                               // 000000016AE4: 0A2627B0
	v_mul_f32_e32 v20, v177, v20                               // 000000016AE8: 0A2829B1
	v_mul_f32_e32 v21, v177, v21                               // 000000016AEC: 0A2A2BB1
	v_mul_f32_e32 v22, v177, v22                               // 000000016AF0: 0A2C2DB1
	v_mul_f32_e32 v23, v177, v23                               // 000000016AF4: 0A2E2FB1
	v_mul_f32_e32 v24, v177, v24                               // 000000016AF8: 0A3031B1
	v_mul_f32_e32 v25, v177, v25                               // 000000016AFC: 0A3233B1
	v_mul_f32_e32 v26, v177, v26                               // 000000016B00: 0A3435B1
	v_mul_f32_e32 v27, v177, v27                               // 000000016B04: 0A3637B1
	v_mul_f32_e32 v28, v177, v28                               // 000000016B08: 0A3839B1
	v_mul_f32_e32 v29, v177, v29                               // 000000016B0C: 0A3A3BB1
	v_mul_f32_e32 v30, v177, v30                               // 000000016B10: 0A3C3DB1
	v_mul_f32_e32 v31, v177, v31                               // 000000016B14: 0A3E3FB1
	v_mul_f32_e32 v32, v177, v32                               // 000000016B18: 0A4041B1
	v_mul_f32_e32 v33, v177, v33                               // 000000016B1C: 0A4243B1
	v_mul_f32_e32 v34, v177, v34                               // 000000016B20: 0A4445B1
	v_mul_f32_e32 v35, v177, v35                               // 000000016B24: 0A4647B1
	v_mul_f32_e32 v36, v178, v36                               // 000000016B28: 0A4849B2
	v_mul_f32_e32 v37, v178, v37                               // 000000016B2C: 0A4A4BB2
	v_mul_f32_e32 v38, v178, v38                               // 000000016B30: 0A4C4DB2
	v_mul_f32_e32 v39, v178, v39                               // 000000016B34: 0A4E4FB2
	v_mul_f32_e32 v40, v178, v40                               // 000000016B38: 0A5051B2
	v_mul_f32_e32 v41, v178, v41                               // 000000016B3C: 0A5253B2
	v_mul_f32_e32 v42, v178, v42                               // 000000016B40: 0A5455B2
	v_mul_f32_e32 v43, v178, v43                               // 000000016B44: 0A5657B2
	v_mul_f32_e32 v44, v178, v44                               // 000000016B48: 0A5859B2
	v_mul_f32_e32 v45, v178, v45                               // 000000016B4C: 0A5A5BB2
	v_mul_f32_e32 v46, v178, v46                               // 000000016B50: 0A5C5DB2
	v_mul_f32_e32 v47, v178, v47                               // 000000016B54: 0A5E5FB2
	v_mul_f32_e32 v48, v178, v48                               // 000000016B58: 0A6061B2
	v_mul_f32_e32 v49, v178, v49                               // 000000016B5C: 0A6263B2
	v_mul_f32_e32 v50, v178, v50                               // 000000016B60: 0A6465B2
	v_mul_f32_e32 v51, v178, v51                               // 000000016B64: 0A6667B2
	v_mul_f32_e32 v52, v179, v52                               // 000000016B68: 0A6869B3
	v_mul_f32_e32 v53, v179, v53                               // 000000016B6C: 0A6A6BB3
	v_mul_f32_e32 v54, v179, v54                               // 000000016B70: 0A6C6DB3
	v_mul_f32_e32 v55, v179, v55                               // 000000016B74: 0A6E6FB3
	v_mul_f32_e32 v56, v179, v56                               // 000000016B78: 0A7071B3
	v_mul_f32_e32 v57, v179, v57                               // 000000016B7C: 0A7273B3
	v_mul_f32_e32 v58, v179, v58                               // 000000016B80: 0A7475B3
	v_mul_f32_e32 v59, v179, v59                               // 000000016B84: 0A7677B3
	v_mul_f32_e32 v60, v179, v60                               // 000000016B88: 0A7879B3
	v_mul_f32_e32 v61, v179, v61                               // 000000016B8C: 0A7A7BB3
	v_mul_f32_e32 v62, v179, v62                               // 000000016B90: 0A7C7DB3
	v_mul_f32_e32 v63, v179, v63                               // 000000016B94: 0A7E7FB3
	v_mul_f32_e32 v64, v179, v64                               // 000000016B98: 0A8081B3
	v_mul_f32_e32 v65, v179, v65                               // 000000016B9C: 0A8283B3
	v_mul_f32_e32 v66, v179, v66                               // 000000016BA0: 0A8485B3
	v_mul_f32_e32 v67, v179, v67                               // 000000016BA4: 0A8687B3
	v_cvt_pk_fp8_f32 v4, v4, v5                                // 000000016BA8: D2A20004 00020B04
	v_cvt_pk_fp8_f32 v4, v6, v7 op_sel:[0,0,1]                 // 000000016BB0: D2A24004 00020F06
	v_cvt_pk_fp8_f32 v5, v8, v9                                // 000000016BB8: D2A20005 00021308
	v_cvt_pk_fp8_f32 v5, v10, v11 op_sel:[0,0,1]               // 000000016BC0: D2A24005 0002170A
	v_cvt_pk_fp8_f32 v6, v12, v13                              // 000000016BC8: D2A20006 00021B0C
	v_cvt_pk_fp8_f32 v6, v14, v15 op_sel:[0,0,1]               // 000000016BD0: D2A24006 00021F0E
	v_cvt_pk_fp8_f32 v7, v16, v17                              // 000000016BD8: D2A20007 00022310
	v_cvt_pk_fp8_f32 v7, v18, v19 op_sel:[0,0,1]               // 000000016BE0: D2A24007 00022712
	v_cvt_pk_fp8_f32 v8, v20, v21                              // 000000016BE8: D2A20008 00022B14
	v_cvt_pk_fp8_f32 v8, v22, v23 op_sel:[0,0,1]               // 000000016BF0: D2A24008 00022F16
	v_cvt_pk_fp8_f32 v9, v24, v25                              // 000000016BF8: D2A20009 00023318
	v_cvt_pk_fp8_f32 v9, v26, v27 op_sel:[0,0,1]               // 000000016C00: D2A24009 0002371A
	v_cvt_pk_fp8_f32 v10, v28, v29                             // 000000016C08: D2A2000A 00023B1C
	v_cvt_pk_fp8_f32 v10, v30, v31 op_sel:[0,0,1]              // 000000016C10: D2A2400A 00023F1E
	v_cvt_pk_fp8_f32 v11, v32, v33                             // 000000016C18: D2A2000B 00024320
	v_cvt_pk_fp8_f32 v11, v34, v35 op_sel:[0,0,1]              // 000000016C20: D2A2400B 00024722
	v_cvt_pk_fp8_f32 v12, v36, v37                             // 000000016C28: D2A2000C 00024B24
	v_cvt_pk_fp8_f32 v12, v38, v39 op_sel:[0,0,1]              // 000000016C30: D2A2400C 00024F26
	v_cvt_pk_fp8_f32 v13, v40, v41                             // 000000016C38: D2A2000D 00025328
	v_cvt_pk_fp8_f32 v13, v42, v43 op_sel:[0,0,1]              // 000000016C40: D2A2400D 0002572A
	v_cvt_pk_fp8_f32 v14, v44, v45                             // 000000016C48: D2A2000E 00025B2C
	v_cvt_pk_fp8_f32 v14, v46, v47 op_sel:[0,0,1]              // 000000016C50: D2A2400E 00025F2E
	v_cvt_pk_fp8_f32 v15, v48, v49                             // 000000016C58: D2A2000F 00026330
	v_cvt_pk_fp8_f32 v15, v50, v51 op_sel:[0,0,1]              // 000000016C60: D2A2400F 00026732
	v_cvt_pk_fp8_f32 v16, v52, v53                             // 000000016C68: D2A20010 00026B34
	v_cvt_pk_fp8_f32 v16, v54, v55 op_sel:[0,0,1]              // 000000016C70: D2A24010 00026F36
	v_cvt_pk_fp8_f32 v17, v56, v57                             // 000000016C78: D2A20011 00027338
	v_cvt_pk_fp8_f32 v17, v58, v59 op_sel:[0,0,1]              // 000000016C80: D2A24011 0002773A
	v_cvt_pk_fp8_f32 v18, v60, v61                             // 000000016C88: D2A20012 00027B3C
	v_cvt_pk_fp8_f32 v18, v62, v63 op_sel:[0,0,1]              // 000000016C90: D2A24012 00027F3E
	v_cvt_pk_fp8_f32 v19, v64, v65                             // 000000016C98: D2A20013 00028340
	v_cvt_pk_fp8_f32 v19, v66, v67 op_sel:[0,0,1]              // 000000016CA0: D2A24013 00028742
	ds_write_b32 v249, v4 offset:8192                          // 000000016CA8: D81A2000 000004F9
	ds_write_b32 v249, v5 offset:9216                          // 000000016CB0: D81A2400 000005F9
	ds_write_b32 v249, v6 offset:10240                         // 000000016CB8: D81A2800 000006F9
	ds_write_b32 v249, v7 offset:11264                         // 000000016CC0: D81A2C00 000007F9
	ds_write_b32 v249, v8 offset:12288                         // 000000016CC8: D81A3000 000008F9
	ds_write_b32 v249, v9 offset:13312                         // 000000016CD0: D81A3400 000009F9
	ds_write_b32 v249, v10 offset:14336                        // 000000016CD8: D81A3800 00000AF9
	ds_write_b32 v249, v11 offset:15360                        // 000000016CE0: D81A3C00 00000BF9
	ds_write_b32 v249, v12 offset:16384                        // 000000016CE8: D81A4000 00000CF9
	ds_write_b32 v249, v13 offset:17408                        // 000000016CF0: D81A4400 00000DF9
	ds_write_b32 v249, v14 offset:18432                        // 000000016CF8: D81A4800 00000EF9
	ds_write_b32 v249, v15 offset:19456                        // 000000016D00: D81A4C00 00000FF9
	ds_write_b32 v249, v16 offset:20480                        // 000000016D08: D81A5000 000010F9
	ds_write_b32 v249, v17 offset:21504                        // 000000016D10: D81A5400 000011F9
	ds_write_b32 v249, v18 offset:22528                        // 000000016D18: D81A5800 000012F9
	ds_write_b32 v249, v19 offset:23552                        // 000000016D20: D81A5C00 000013F9
	v_rcp_f32_e32 v144, v176                                   // 000000016D28: 7F2045B0
	v_rcp_f32_e32 v146, v177                                   // 000000016D2C: 7F2445B1
	v_rcp_f32_e32 v148, v178                                   // 000000016D30: 7F2845B2
	v_rcp_f32_e32 v150, v179                                   // 000000016D34: 7F2C45B3
	v_mov_b32_e32 v145, v144                                   // 000000016D38: 7F220390
	v_mov_b32_e32 v147, v146                                   // 000000016D3C: 7F260392
	v_mov_b32_e32 v149, v148                                   // 000000016D40: 7F2A0394
	v_mov_b32_e32 v151, v150                                   // 000000016D44: 7F2E0396
	v_pk_add_f32 v[100:101], v[100:101], v[68:69]              // 000000016D48: D3B24064 18028964
	v_pk_add_f32 v[102:103], v[102:103], v[70:71]              // 000000016D50: D3B24066 18028D66
	v_pk_add_f32 v[104:105], v[104:105], v[72:73]              // 000000016D58: D3B24068 18029168
	v_pk_add_f32 v[106:107], v[106:107], v[74:75]              // 000000016D60: D3B2406A 1802956A
	v_pk_add_f32 v[108:109], v[108:109], v[76:77]              // 000000016D68: D3B2406C 1802996C
	v_pk_add_f32 v[110:111], v[110:111], v[78:79]              // 000000016D70: D3B2406E 18029D6E
	v_pk_add_f32 v[112:113], v[112:113], v[80:81]              // 000000016D78: D3B24070 1802A170
	v_pk_add_f32 v[114:115], v[114:115], v[82:83]              // 000000016D80: D3B24072 1802A572
	v_pk_add_f32 v[116:117], v[116:117], v[84:85]              // 000000016D88: D3B24074 1802A974
	v_pk_add_f32 v[118:119], v[118:119], v[86:87]              // 000000016D90: D3B24076 1802AD76
	v_pk_add_f32 v[120:121], v[120:121], v[88:89]              // 000000016D98: D3B24078 1802B178
	v_pk_add_f32 v[122:123], v[122:123], v[90:91]              // 000000016DA0: D3B2407A 1802B57A
	v_pk_add_f32 v[124:125], v[124:125], v[92:93]              // 000000016DA8: D3B2407C 1802B97C
	v_pk_add_f32 v[126:127], v[126:127], v[94:95]              // 000000016DB0: D3B2407E 1802BD7E
	v_pk_add_f32 v[128:129], v[128:129], v[96:97]              // 000000016DB8: D3B24080 1802C180
	v_pk_add_f32 v[130:131], v[130:131], v[98:99]              // 000000016DC0: D3B24082 1802C582
	s_waitcnt lgkmcnt(0)                                       // 000000016DC8: BF8CC07F
	s_barrier                                                  // 000000016DCC: BF8A0000
	ds_read_b128 v[4:7], v250 offset:8192                      // 000000016DD0: D9FE2000 040000FA
	ds_read_b128 v[8:11], v250 offset:9216                     // 000000016DD8: D9FE2400 080000FA
	ds_read_b128 v[12:15], v250 offset:10240                   // 000000016DE0: D9FE2800 0C0000FA
	ds_read_b128 v[16:19], v250 offset:11264                   // 000000016DE8: D9FE2C00 100000FA
	ds_read_b128 v[20:23], v250 offset:12288                   // 000000016DF0: D9FE3000 140000FA
	ds_read_b128 v[24:27], v250 offset:13312                   // 000000016DF8: D9FE3400 180000FA
	ds_read_b128 v[28:31], v250 offset:14336                   // 000000016E00: D9FE3800 1C0000FA
	ds_read_b128 v[32:35], v250 offset:15360                   // 000000016E08: D9FE3C00 200000FA
	ds_read_b128 v[36:39], v250 offset:16384                   // 000000016E10: D9FE4000 240000FA
	ds_read_b128 v[40:43], v250 offset:17408                   // 000000016E18: D9FE4400 280000FA
	ds_read_b128 v[44:47], v250 offset:18432                   // 000000016E20: D9FE4800 2C0000FA
	ds_read_b128 v[48:51], v250 offset:19456                   // 000000016E28: D9FE4C00 300000FA
	ds_read_b128 v[52:55], v250 offset:20480                   // 000000016E30: D9FE5000 340000FA
	ds_read_b128 v[56:59], v250 offset:21504                   // 000000016E38: D9FE5400 380000FA
	ds_read_b128 v[60:63], v250 offset:22528                   // 000000016E40: D9FE5800 3C0000FA
	ds_read_b128 v[64:67], v250 offset:23552                   // 000000016E48: D9FE5C00 400000FA
	s_waitcnt vmcnt(10)                                        // 000000016E50: BF8C0F7A
	v_lshrrev_b32_e32 v203, 4, v0                              // 000000016E54: 21960084
	v_lshlrev_b32_e32 v203, 4, v203                            // 000000016E58: 25979684
	v_add_u32_e32 v196, s64, v203                              // 000000016E5C: 69899640
	v_add_u32_e32 v196, 4, v196                                // 000000016E60: 69898884
	v_sub_i32 v196, v196, s62                                  // 000000016E64: D29D00C4 00007DC4
	s_mov_b32 s54, 0                                           // 000000016E6C: BEB60080
	v_add_i32 v197, s54, v196                                  // 000000016E70: D29C00C5 00038836
	v_cmp_lt_i32_e64 vcc, v197, 4                              // 000000016E78: D0C1006A 000109C5
	v_min_u32_e32 v197, 4, v197                                // 000000016E80: 1D8B8A84
	v_lshlrev_b32_e32 v197, 3, v197                            // 000000016E84: 258B8A83
	v_lshrrev_b32_e64 v198, v197, -1                           // 000000016E88: D11000C6 000183C5
	v_accvgpr_read_b32 v199, a128                              // 000000016E90: D3D840C7 18000180
	v_cndmask_b32_e32 v199, 0, v199, vcc                       // 000000016E98: 018F8E80
	v_and_b32_e32 v199, v199, v198                             // 000000016E9C: 278F8DC7
	v_accvgpr_write_b32 a128, v199                             // 000000016EA0: D3D94080 180001C7
	v_accvgpr_read_b32 v199, a144                              // 000000016EA8: D3D840C7 18000190
	v_cndmask_b32_e32 v199, 0, v199, vcc                       // 000000016EB0: 018F8E80
	v_and_b32_e32 v199, v199, v198                             // 000000016EB4: 278F8DC7
	v_accvgpr_write_b32 a144, v199                             // 000000016EB8: D3D94090 180001C7
	s_mov_b32 s54, 4                                           // 000000016EC0: BEB60084
	v_add_i32 v197, s54, v196                                  // 000000016EC4: D29C00C5 00038836
	v_cmp_lt_i32_e64 vcc, v197, 4                              // 000000016ECC: D0C1006A 000109C5
	v_min_u32_e32 v197, 4, v197                                // 000000016ED4: 1D8B8A84
	v_lshlrev_b32_e32 v197, 3, v197                            // 000000016ED8: 258B8A83
	v_lshrrev_b32_e64 v198, v197, -1                           // 000000016EDC: D11000C6 000183C5
	v_accvgpr_read_b32 v199, a129                              // 000000016EE4: D3D840C7 18000181
	v_cndmask_b32_e32 v199, 0, v199, vcc                       // 000000016EEC: 018F8E80
	v_and_b32_e32 v199, v199, v198                             // 000000016EF0: 278F8DC7
	v_accvgpr_write_b32 a129, v199                             // 000000016EF4: D3D94081 180001C7
	v_accvgpr_read_b32 v199, a145                              // 000000016EFC: D3D840C7 18000191
	v_cndmask_b32_e32 v199, 0, v199, vcc                       // 000000016F04: 018F8E80
	v_and_b32_e32 v199, v199, v198                             // 000000016F08: 278F8DC7
	v_accvgpr_write_b32 a145, v199                             // 000000016F0C: D3D94091 180001C7
	s_mov_b32 s54, 8                                           // 000000016F14: BEB60088
	v_add_i32 v197, s54, v196                                  // 000000016F18: D29C00C5 00038836
	v_cmp_lt_i32_e64 vcc, v197, 4                              // 000000016F20: D0C1006A 000109C5
	v_min_u32_e32 v197, 4, v197                                // 000000016F28: 1D8B8A84
	v_lshlrev_b32_e32 v197, 3, v197                            // 000000016F2C: 258B8A83
	v_lshrrev_b32_e64 v198, v197, -1                           // 000000016F30: D11000C6 000183C5
	v_accvgpr_read_b32 v199, a130                              // 000000016F38: D3D840C7 18000182
	v_cndmask_b32_e32 v199, 0, v199, vcc                       // 000000016F40: 018F8E80
	v_and_b32_e32 v199, v199, v198                             // 000000016F44: 278F8DC7
	v_accvgpr_write_b32 a130, v199                             // 000000016F48: D3D94082 180001C7
	v_accvgpr_read_b32 v199, a146                              // 000000016F50: D3D840C7 18000192
	v_cndmask_b32_e32 v199, 0, v199, vcc                       // 000000016F58: 018F8E80
	v_and_b32_e32 v199, v199, v198                             // 000000016F5C: 278F8DC7
	v_accvgpr_write_b32 a146, v199                             // 000000016F60: D3D94092 180001C7
	s_mov_b32 s54, 12                                          // 000000016F68: BEB6008C
	v_add_i32 v197, s54, v196                                  // 000000016F6C: D29C00C5 00038836
	v_cmp_lt_i32_e64 vcc, v197, 4                              // 000000016F74: D0C1006A 000109C5
	v_min_u32_e32 v197, 4, v197                                // 000000016F7C: 1D8B8A84
	v_lshlrev_b32_e32 v197, 3, v197                            // 000000016F80: 258B8A83
	v_lshrrev_b32_e64 v198, v197, -1                           // 000000016F84: D11000C6 000183C5
	v_accvgpr_read_b32 v199, a131                              // 000000016F8C: D3D840C7 18000183
	v_cndmask_b32_e32 v199, 0, v199, vcc                       // 000000016F94: 018F8E80
	v_and_b32_e32 v199, v199, v198                             // 000000016F98: 278F8DC7
	v_accvgpr_write_b32 a131, v199                             // 000000016F9C: D3D94083 180001C7
	v_accvgpr_read_b32 v199, a147                              // 000000016FA4: D3D840C7 18000193
	v_cndmask_b32_e32 v199, 0, v199, vcc                       // 000000016FAC: 018F8E80
	v_and_b32_e32 v199, v199, v198                             // 000000016FB0: 278F8DC7
	v_accvgpr_write_b32 a147, v199                             // 000000016FB4: D3D94093 180001C7
	s_mov_b32 s54, 64                                          // 000000016FBC: BEB600C0
	v_add_i32 v197, s54, v196                                  // 000000016FC0: D29C00C5 00038836
	v_cmp_lt_i32_e64 vcc, v197, 4                              // 000000016FC8: D0C1006A 000109C5
	v_min_u32_e32 v197, 4, v197                                // 000000016FD0: 1D8B8A84
	v_lshlrev_b32_e32 v197, 3, v197                            // 000000016FD4: 258B8A83
	v_lshrrev_b32_e64 v198, v197, -1                           // 000000016FD8: D11000C6 000183C5
	v_accvgpr_read_b32 v199, a132                              // 000000016FE0: D3D840C7 18000184
	v_cndmask_b32_e32 v199, 0, v199, vcc                       // 000000016FE8: 018F8E80
	v_and_b32_e32 v199, v199, v198                             // 000000016FEC: 278F8DC7
	v_accvgpr_write_b32 a132, v199                             // 000000016FF0: D3D94084 180001C7
	v_accvgpr_read_b32 v199, a148                              // 000000016FF8: D3D840C7 18000194
	v_cndmask_b32_e32 v199, 0, v199, vcc                       // 000000017000: 018F8E80
	v_and_b32_e32 v199, v199, v198                             // 000000017004: 278F8DC7
	v_accvgpr_write_b32 a148, v199                             // 000000017008: D3D94094 180001C7
	s_mov_b32 s54, 0x44                                        // 000000017010: BEB600FF 00000044
	v_add_i32 v197, s54, v196                                  // 000000017018: D29C00C5 00038836
	v_cmp_lt_i32_e64 vcc, v197, 4                              // 000000017020: D0C1006A 000109C5
	v_min_u32_e32 v197, 4, v197                                // 000000017028: 1D8B8A84
	v_lshlrev_b32_e32 v197, 3, v197                            // 00000001702C: 258B8A83
	v_lshrrev_b32_e64 v198, v197, -1                           // 000000017030: D11000C6 000183C5
	v_accvgpr_read_b32 v199, a133                              // 000000017038: D3D840C7 18000185
	v_cndmask_b32_e32 v199, 0, v199, vcc                       // 000000017040: 018F8E80
	v_and_b32_e32 v199, v199, v198                             // 000000017044: 278F8DC7
	v_accvgpr_write_b32 a133, v199                             // 000000017048: D3D94085 180001C7
	v_accvgpr_read_b32 v199, a149                              // 000000017050: D3D840C7 18000195
	v_cndmask_b32_e32 v199, 0, v199, vcc                       // 000000017058: 018F8E80
	v_and_b32_e32 v199, v199, v198                             // 00000001705C: 278F8DC7
	v_accvgpr_write_b32 a149, v199                             // 000000017060: D3D94095 180001C7
	s_mov_b32 s54, 0x48                                        // 000000017068: BEB600FF 00000048
	v_add_i32 v197, s54, v196                                  // 000000017070: D29C00C5 00038836
	v_cmp_lt_i32_e64 vcc, v197, 4                              // 000000017078: D0C1006A 000109C5
	v_min_u32_e32 v197, 4, v197                                // 000000017080: 1D8B8A84
	v_lshlrev_b32_e32 v197, 3, v197                            // 000000017084: 258B8A83
	v_lshrrev_b32_e64 v198, v197, -1                           // 000000017088: D11000C6 000183C5
	v_accvgpr_read_b32 v199, a134                              // 000000017090: D3D840C7 18000186
	v_cndmask_b32_e32 v199, 0, v199, vcc                       // 000000017098: 018F8E80
	v_and_b32_e32 v199, v199, v198                             // 00000001709C: 278F8DC7
	v_accvgpr_write_b32 a134, v199                             // 0000000170A0: D3D94086 180001C7
	v_accvgpr_read_b32 v199, a150                              // 0000000170A8: D3D840C7 18000196
	v_cndmask_b32_e32 v199, 0, v199, vcc                       // 0000000170B0: 018F8E80
	v_and_b32_e32 v199, v199, v198                             // 0000000170B4: 278F8DC7
	v_accvgpr_write_b32 a150, v199                             // 0000000170B8: D3D94096 180001C7
	s_mov_b32 s54, 0x4c                                        // 0000000170C0: BEB600FF 0000004C
	v_add_i32 v197, s54, v196                                  // 0000000170C8: D29C00C5 00038836
	v_cmp_lt_i32_e64 vcc, v197, 4                              // 0000000170D0: D0C1006A 000109C5
	v_min_u32_e32 v197, 4, v197                                // 0000000170D8: 1D8B8A84
	v_lshlrev_b32_e32 v197, 3, v197                            // 0000000170DC: 258B8A83
	v_lshrrev_b32_e64 v198, v197, -1                           // 0000000170E0: D11000C6 000183C5
	v_accvgpr_read_b32 v199, a135                              // 0000000170E8: D3D840C7 18000187
	v_cndmask_b32_e32 v199, 0, v199, vcc                       // 0000000170F0: 018F8E80
	v_and_b32_e32 v199, v199, v198                             // 0000000170F4: 278F8DC7
	v_accvgpr_write_b32 a135, v199                             // 0000000170F8: D3D94087 180001C7
	v_accvgpr_read_b32 v199, a151                              // 000000017100: D3D840C7 18000197
	v_cndmask_b32_e32 v199, 0, v199, vcc                       // 000000017108: 018F8E80
	v_and_b32_e32 v199, v199, v198                             // 00000001710C: 278F8DC7
	v_accvgpr_write_b32 a151, v199                             // 000000017110: D3D94097 180001C7
	s_mov_b32 s54, 0x80                                        // 000000017118: BEB600FF 00000080
	v_add_i32 v197, s54, v196                                  // 000000017120: D29C00C5 00038836
	v_cmp_lt_i32_e64 vcc, v197, 4                              // 000000017128: D0C1006A 000109C5
	v_min_u32_e32 v197, 4, v197                                // 000000017130: 1D8B8A84
	v_lshlrev_b32_e32 v197, 3, v197                            // 000000017134: 258B8A83
	v_lshrrev_b32_e64 v198, v197, -1                           // 000000017138: D11000C6 000183C5
	v_accvgpr_read_b32 v199, a136                              // 000000017140: D3D840C7 18000188
	v_cndmask_b32_e32 v199, 0, v199, vcc                       // 000000017148: 018F8E80
	v_and_b32_e32 v199, v199, v198                             // 00000001714C: 278F8DC7
	v_accvgpr_write_b32 a136, v199                             // 000000017150: D3D94088 180001C7
	v_accvgpr_read_b32 v199, a152                              // 000000017158: D3D840C7 18000198
	v_cndmask_b32_e32 v199, 0, v199, vcc                       // 000000017160: 018F8E80
	v_and_b32_e32 v199, v199, v198                             // 000000017164: 278F8DC7
	v_accvgpr_write_b32 a152, v199                             // 000000017168: D3D94098 180001C7
	s_mov_b32 s54, 0x84                                        // 000000017170: BEB600FF 00000084
	v_add_i32 v197, s54, v196                                  // 000000017178: D29C00C5 00038836
	v_cmp_lt_i32_e64 vcc, v197, 4                              // 000000017180: D0C1006A 000109C5
	v_min_u32_e32 v197, 4, v197                                // 000000017188: 1D8B8A84
	v_lshlrev_b32_e32 v197, 3, v197                            // 00000001718C: 258B8A83
	v_lshrrev_b32_e64 v198, v197, -1                           // 000000017190: D11000C6 000183C5
	v_accvgpr_read_b32 v199, a137                              // 000000017198: D3D840C7 18000189
	v_cndmask_b32_e32 v199, 0, v199, vcc                       // 0000000171A0: 018F8E80
	v_and_b32_e32 v199, v199, v198                             // 0000000171A4: 278F8DC7
	v_accvgpr_write_b32 a137, v199                             // 0000000171A8: D3D94089 180001C7
	v_accvgpr_read_b32 v199, a153                              // 0000000171B0: D3D840C7 18000199
	v_cndmask_b32_e32 v199, 0, v199, vcc                       // 0000000171B8: 018F8E80
	v_and_b32_e32 v199, v199, v198                             // 0000000171BC: 278F8DC7
	v_accvgpr_write_b32 a153, v199                             // 0000000171C0: D3D94099 180001C7
	s_mov_b32 s54, 0x88                                        // 0000000171C8: BEB600FF 00000088
	v_add_i32 v197, s54, v196                                  // 0000000171D0: D29C00C5 00038836
	v_cmp_lt_i32_e64 vcc, v197, 4                              // 0000000171D8: D0C1006A 000109C5
	v_min_u32_e32 v197, 4, v197                                // 0000000171E0: 1D8B8A84
	v_lshlrev_b32_e32 v197, 3, v197                            // 0000000171E4: 258B8A83
	v_lshrrev_b32_e64 v198, v197, -1                           // 0000000171E8: D11000C6 000183C5
	v_accvgpr_read_b32 v199, a138                              // 0000000171F0: D3D840C7 1800018A
	v_cndmask_b32_e32 v199, 0, v199, vcc                       // 0000000171F8: 018F8E80
	v_and_b32_e32 v199, v199, v198                             // 0000000171FC: 278F8DC7
	v_accvgpr_write_b32 a138, v199                             // 000000017200: D3D9408A 180001C7
	v_accvgpr_read_b32 v199, a154                              // 000000017208: D3D840C7 1800019A
	v_cndmask_b32_e32 v199, 0, v199, vcc                       // 000000017210: 018F8E80
	v_and_b32_e32 v199, v199, v198                             // 000000017214: 278F8DC7
	v_accvgpr_write_b32 a154, v199                             // 000000017218: D3D9409A 180001C7
	s_mov_b32 s54, 0x8c                                        // 000000017220: BEB600FF 0000008C
	v_add_i32 v197, s54, v196                                  // 000000017228: D29C00C5 00038836
	v_cmp_lt_i32_e64 vcc, v197, 4                              // 000000017230: D0C1006A 000109C5
	v_min_u32_e32 v197, 4, v197                                // 000000017238: 1D8B8A84
	v_lshlrev_b32_e32 v197, 3, v197                            // 00000001723C: 258B8A83
	v_lshrrev_b32_e64 v198, v197, -1                           // 000000017240: D11000C6 000183C5
	v_accvgpr_read_b32 v199, a139                              // 000000017248: D3D840C7 1800018B
	v_cndmask_b32_e32 v199, 0, v199, vcc                       // 000000017250: 018F8E80
	v_and_b32_e32 v199, v199, v198                             // 000000017254: 278F8DC7
	v_accvgpr_write_b32 a139, v199                             // 000000017258: D3D9408B 180001C7
	v_accvgpr_read_b32 v199, a155                              // 000000017260: D3D840C7 1800019B
	v_cndmask_b32_e32 v199, 0, v199, vcc                       // 000000017268: 018F8E80
	v_and_b32_e32 v199, v199, v198                             // 00000001726C: 278F8DC7
	v_accvgpr_write_b32 a155, v199                             // 000000017270: D3D9409B 180001C7
	s_mov_b32 s54, 0xc0                                        // 000000017278: BEB600FF 000000C0
	v_add_i32 v197, s54, v196                                  // 000000017280: D29C00C5 00038836
	v_cmp_lt_i32_e64 vcc, v197, 4                              // 000000017288: D0C1006A 000109C5
	v_min_u32_e32 v197, 4, v197                                // 000000017290: 1D8B8A84
	v_lshlrev_b32_e32 v197, 3, v197                            // 000000017294: 258B8A83
	v_lshrrev_b32_e64 v198, v197, -1                           // 000000017298: D11000C6 000183C5
	v_accvgpr_read_b32 v199, a140                              // 0000000172A0: D3D840C7 1800018C
	v_cndmask_b32_e32 v199, 0, v199, vcc                       // 0000000172A8: 018F8E80
	v_and_b32_e32 v199, v199, v198                             // 0000000172AC: 278F8DC7
	v_accvgpr_write_b32 a140, v199                             // 0000000172B0: D3D9408C 180001C7
	v_accvgpr_read_b32 v199, a156                              // 0000000172B8: D3D840C7 1800019C
	v_cndmask_b32_e32 v199, 0, v199, vcc                       // 0000000172C0: 018F8E80
	v_and_b32_e32 v199, v199, v198                             // 0000000172C4: 278F8DC7
	v_accvgpr_write_b32 a156, v199                             // 0000000172C8: D3D9409C 180001C7
	s_mov_b32 s54, 0xc4                                        // 0000000172D0: BEB600FF 000000C4
	v_add_i32 v197, s54, v196                                  // 0000000172D8: D29C00C5 00038836
	v_cmp_lt_i32_e64 vcc, v197, 4                              // 0000000172E0: D0C1006A 000109C5
	v_min_u32_e32 v197, 4, v197                                // 0000000172E8: 1D8B8A84
	v_lshlrev_b32_e32 v197, 3, v197                            // 0000000172EC: 258B8A83
	v_lshrrev_b32_e64 v198, v197, -1                           // 0000000172F0: D11000C6 000183C5
	v_accvgpr_read_b32 v199, a141                              // 0000000172F8: D3D840C7 1800018D
	v_cndmask_b32_e32 v199, 0, v199, vcc                       // 000000017300: 018F8E80
	v_and_b32_e32 v199, v199, v198                             // 000000017304: 278F8DC7
	v_accvgpr_write_b32 a141, v199                             // 000000017308: D3D9408D 180001C7
	v_accvgpr_read_b32 v199, a157                              // 000000017310: D3D840C7 1800019D
	v_cndmask_b32_e32 v199, 0, v199, vcc                       // 000000017318: 018F8E80
	v_and_b32_e32 v199, v199, v198                             // 00000001731C: 278F8DC7
	v_accvgpr_write_b32 a157, v199                             // 000000017320: D3D9409D 180001C7
	s_mov_b32 s54, 0xc8                                        // 000000017328: BEB600FF 000000C8
	v_add_i32 v197, s54, v196                                  // 000000017330: D29C00C5 00038836
	v_cmp_lt_i32_e64 vcc, v197, 4                              // 000000017338: D0C1006A 000109C5
	v_min_u32_e32 v197, 4, v197                                // 000000017340: 1D8B8A84
	v_lshlrev_b32_e32 v197, 3, v197                            // 000000017344: 258B8A83
	v_lshrrev_b32_e64 v198, v197, -1                           // 000000017348: D11000C6 000183C5
	v_accvgpr_read_b32 v199, a142                              // 000000017350: D3D840C7 1800018E
	v_cndmask_b32_e32 v199, 0, v199, vcc                       // 000000017358: 018F8E80
	v_and_b32_e32 v199, v199, v198                             // 00000001735C: 278F8DC7
	v_accvgpr_write_b32 a142, v199                             // 000000017360: D3D9408E 180001C7
	v_accvgpr_read_b32 v199, a158                              // 000000017368: D3D840C7 1800019E
	v_cndmask_b32_e32 v199, 0, v199, vcc                       // 000000017370: 018F8E80
	v_and_b32_e32 v199, v199, v198                             // 000000017374: 278F8DC7
	v_accvgpr_write_b32 a158, v199                             // 000000017378: D3D9409E 180001C7
	s_mov_b32 s54, 0xcc                                        // 000000017380: BEB600FF 000000CC
	v_add_i32 v197, s54, v196                                  // 000000017388: D29C00C5 00038836
	v_cmp_lt_i32_e64 vcc, v197, 4                              // 000000017390: D0C1006A 000109C5
	v_min_u32_e32 v197, 4, v197                                // 000000017398: 1D8B8A84
	v_lshlrev_b32_e32 v197, 3, v197                            // 00000001739C: 258B8A83
	v_lshrrev_b32_e64 v198, v197, -1                           // 0000000173A0: D11000C6 000183C5
	v_accvgpr_read_b32 v199, a143                              // 0000000173A8: D3D840C7 1800018F
	v_cndmask_b32_e32 v199, 0, v199, vcc                       // 0000000173B0: 018F8E80
	v_and_b32_e32 v199, v199, v198                             // 0000000173B4: 278F8DC7
	v_accvgpr_write_b32 a143, v199                             // 0000000173B8: D3D9408F 180001C7
	v_accvgpr_read_b32 v199, a159                              // 0000000173C0: D3D840C7 1800019F
	v_cndmask_b32_e32 v199, 0, v199, vcc                       // 0000000173C8: 018F8E80
	v_and_b32_e32 v199, v199, v198                             // 0000000173CC: 278F8DC7
	v_accvgpr_write_b32 a159, v199                             // 0000000173D0: D3D9409F 180001C7
	s_waitcnt vmcnt(63) expcnt(7) lgkmcnt(15)                  // 0000000173D8: BF8CCF7F
	v_mfma_f32_16x16x32_fp8_fp8 v[68:71], a[128:129], v[4:5], 0// 0000000173DC: D3F30044 0A020980
	v_mfma_f32_16x16x32_fp8_fp8 v[72:75], a[144:145], v[4:5], 0// 0000000173E4: D3F30048 0A020990
	v_mfma_f32_16x16x32_fp8_fp8 v[68:71], a[130:131], v[6:7], v[68:71]// 0000000173EC: D3F30044 0D120D82
	buffer_load_dwordx4 a[96:99], v227, s[16:19], 0 offen      // 0000000173F4: E05C1000 808460E3
	v_mfma_f32_16x16x32_fp8_fp8 v[72:75], a[146:147], v[6:7], v[72:75]// 0000000173FC: D3F30048 0D220D92
	s_waitcnt lgkmcnt(14)                                      // 000000017404: BF8CCE7F
	v_mfma_f32_16x16x32_fp8_fp8 v[68:71], a[132:133], v[8:9], v[68:71]// 000000017408: D3F30044 0D121184
	v_mfma_f32_16x16x32_fp8_fp8 v[72:75], a[148:149], v[8:9], v[72:75]// 000000017410: D3F30048 0D221194
	v_mfma_f32_16x16x32_fp8_fp8 v[68:71], a[134:135], v[10:11], v[68:71]// 000000017418: D3F30044 0D121586
	buffer_load_dwordx4 a[100:103], v228, s[16:19], 0 offen    // 000000017420: E05C1000 808464E4
	v_mfma_f32_16x16x32_fp8_fp8 v[72:75], a[150:151], v[10:11], v[72:75]// 000000017428: D3F30048 0D221596
	s_waitcnt lgkmcnt(13)                                      // 000000017430: BF8CCD7F
	v_mfma_f32_16x16x32_fp8_fp8 v[68:71], a[136:137], v[12:13], v[68:71]// 000000017434: D3F30044 0D121988
	v_mfma_f32_16x16x32_fp8_fp8 v[72:75], a[152:153], v[12:13], v[72:75]// 00000001743C: D3F30048 0D221998
	v_mfma_f32_16x16x32_fp8_fp8 v[68:71], a[138:139], v[14:15], v[68:71]// 000000017444: D3F30044 0D121D8A
	buffer_load_dwordx4 a[104:107], v229, s[16:19], 0 offen    // 00000001744C: E05C1000 808468E5
	v_mfma_f32_16x16x32_fp8_fp8 v[72:75], a[154:155], v[14:15], v[72:75]// 000000017454: D3F30048 0D221D9A
	s_waitcnt lgkmcnt(12)                                      // 00000001745C: BF8CCC7F
	v_mfma_f32_16x16x32_fp8_fp8 v[68:71], a[140:141], v[16:17], v[68:71]// 000000017460: D3F30044 0D12218C
	v_mfma_f32_16x16x32_fp8_fp8 v[72:75], a[156:157], v[16:17], v[72:75]// 000000017468: D3F30048 0D22219C
	v_mfma_f32_16x16x32_fp8_fp8 v[68:71], a[142:143], v[18:19], v[68:71]// 000000017470: D3F30044 0D12258E
	buffer_load_dwordx4 a[108:111], v230, s[16:19], 0 offen    // 000000017478: E05C1000 80846CE6
	v_mfma_f32_16x16x32_fp8_fp8 v[72:75], a[158:159], v[18:19], v[72:75]// 000000017480: D3F30048 0D22259E
	s_waitcnt lgkmcnt(11)                                      // 000000017488: BF8CCB7F
	v_mfma_f32_16x16x32_fp8_fp8 v[76:79], a[128:129], v[20:21], 0// 00000001748C: D3F3004C 0A022980
	v_mfma_f32_16x16x32_fp8_fp8 v[80:83], a[144:145], v[20:21], 0// 000000017494: D3F30050 0A022990
	v_mfma_f32_16x16x32_fp8_fp8 v[76:79], a[130:131], v[22:23], v[76:79]// 00000001749C: D3F3004C 0D322D82
	buffer_load_dwordx4 a[112:115], v227, s[16:19], 0 offen offset:1024// 0000000174A4: E05C1400 808470E3
	v_mfma_f32_16x16x32_fp8_fp8 v[80:83], a[146:147], v[22:23], v[80:83]// 0000000174AC: D3F30050 0D422D92
	s_waitcnt lgkmcnt(10)                                      // 0000000174B4: BF8CCA7F
	v_mfma_f32_16x16x32_fp8_fp8 v[76:79], a[132:133], v[24:25], v[76:79]// 0000000174B8: D3F3004C 0D323184
	v_mfma_f32_16x16x32_fp8_fp8 v[80:83], a[148:149], v[24:25], v[80:83]// 0000000174C0: D3F30050 0D423194
	v_mfma_f32_16x16x32_fp8_fp8 v[76:79], a[134:135], v[26:27], v[76:79]// 0000000174C8: D3F3004C 0D323586
	buffer_load_dwordx4 a[116:119], v228, s[16:19], 0 offen offset:1024// 0000000174D0: E05C1400 808474E4
	v_mfma_f32_16x16x32_fp8_fp8 v[80:83], a[150:151], v[26:27], v[80:83]// 0000000174D8: D3F30050 0D423596
	s_waitcnt lgkmcnt(9)                                       // 0000000174E0: BF8CC97F
	v_mfma_f32_16x16x32_fp8_fp8 v[76:79], a[136:137], v[28:29], v[76:79]// 0000000174E4: D3F3004C 0D323988
	v_mfma_f32_16x16x32_fp8_fp8 v[80:83], a[152:153], v[28:29], v[80:83]// 0000000174EC: D3F30050 0D423998
	v_mfma_f32_16x16x32_fp8_fp8 v[76:79], a[138:139], v[30:31], v[76:79]// 0000000174F4: D3F3004C 0D323D8A
	buffer_load_dwordx4 a[120:123], v229, s[16:19], 0 offen offset:1024// 0000000174FC: E05C1400 808478E5
	v_mfma_f32_16x16x32_fp8_fp8 v[80:83], a[154:155], v[30:31], v[80:83]// 000000017504: D3F30050 0D423D9A
	s_waitcnt lgkmcnt(8)                                       // 00000001750C: BF8CC87F
	v_mfma_f32_16x16x32_fp8_fp8 v[76:79], a[140:141], v[32:33], v[76:79]// 000000017510: D3F3004C 0D32418C
	v_mfma_f32_16x16x32_fp8_fp8 v[80:83], a[156:157], v[32:33], v[80:83]// 000000017518: D3F30050 0D42419C
	v_mfma_f32_16x16x32_fp8_fp8 v[76:79], a[142:143], v[34:35], v[76:79]// 000000017520: D3F3004C 0D32458E
	buffer_load_dwordx4 a[124:127], v230, s[16:19], 0 offen offset:1024// 000000017528: E05C1400 80847CE6
	v_mfma_f32_16x16x32_fp8_fp8 v[80:83], a[158:159], v[34:35], v[80:83]// 000000017530: D3F30050 0D42459E
	s_waitcnt lgkmcnt(7)                                       // 000000017538: BF8CC77F
	v_mfma_f32_16x16x32_fp8_fp8 v[84:87], a[128:129], v[36:37], 0// 00000001753C: D3F30054 0A024980
	v_mfma_f32_16x16x32_fp8_fp8 v[88:91], a[144:145], v[36:37], 0// 000000017544: D3F30058 0A024990
	v_mfma_f32_16x16x32_fp8_fp8 v[84:87], a[130:131], v[38:39], v[84:87]// 00000001754C: D3F30054 0D524D82
	v_mfma_f32_16x16x32_fp8_fp8 v[88:91], a[146:147], v[38:39], v[88:91]// 000000017554: D3F30058 0D624D92
	s_waitcnt lgkmcnt(6)                                       // 00000001755C: BF8CC67F
	v_mfma_f32_16x16x32_fp8_fp8 v[84:87], a[132:133], v[40:41], v[84:87]// 000000017560: D3F30054 0D525184
	v_mfma_f32_16x16x32_fp8_fp8 v[88:91], a[148:149], v[40:41], v[88:91]// 000000017568: D3F30058 0D625194
	v_mfma_f32_16x16x32_fp8_fp8 v[84:87], a[134:135], v[42:43], v[84:87]// 000000017570: D3F30054 0D525586
	v_mfma_f32_16x16x32_fp8_fp8 v[88:91], a[150:151], v[42:43], v[88:91]// 000000017578: D3F30058 0D625596
	s_waitcnt lgkmcnt(5)                                       // 000000017580: BF8CC57F
	v_mfma_f32_16x16x32_fp8_fp8 v[84:87], a[136:137], v[44:45], v[84:87]// 000000017584: D3F30054 0D525988
	v_mfma_f32_16x16x32_fp8_fp8 v[88:91], a[152:153], v[44:45], v[88:91]// 00000001758C: D3F30058 0D625998
	v_mfma_f32_16x16x32_fp8_fp8 v[84:87], a[138:139], v[46:47], v[84:87]// 000000017594: D3F30054 0D525D8A
	v_mfma_f32_16x16x32_fp8_fp8 v[88:91], a[154:155], v[46:47], v[88:91]// 00000001759C: D3F30058 0D625D9A
	s_waitcnt lgkmcnt(4)                                       // 0000000175A4: BF8CC47F
	v_mfma_f32_16x16x32_fp8_fp8 v[84:87], a[140:141], v[48:49], v[84:87]// 0000000175A8: D3F30054 0D52618C
	v_mfma_f32_16x16x32_fp8_fp8 v[88:91], a[156:157], v[48:49], v[88:91]// 0000000175B0: D3F30058 0D62619C
	v_mfma_f32_16x16x32_fp8_fp8 v[84:87], a[142:143], v[50:51], v[84:87]// 0000000175B8: D3F30054 0D52658E
	v_mfma_f32_16x16x32_fp8_fp8 v[88:91], a[158:159], v[50:51], v[88:91]// 0000000175C0: D3F30058 0D62659E
	s_waitcnt lgkmcnt(3)                                       // 0000000175C8: BF8CC37F
	v_mfma_f32_16x16x32_fp8_fp8 v[92:95], a[128:129], v[52:53], 0// 0000000175CC: D3F3005C 0A026980
	v_mfma_f32_16x16x32_fp8_fp8 v[96:99], a[144:145], v[52:53], 0// 0000000175D4: D3F30060 0A026990
	v_mfma_f32_16x16x32_fp8_fp8 v[92:95], a[130:131], v[54:55], v[92:95]// 0000000175DC: D3F3005C 0D726D82
	v_mfma_f32_16x16x32_fp8_fp8 v[96:99], a[146:147], v[54:55], v[96:99]// 0000000175E4: D3F30060 0D826D92
	s_waitcnt lgkmcnt(2)                                       // 0000000175EC: BF8CC27F
	v_mfma_f32_16x16x32_fp8_fp8 v[92:95], a[132:133], v[56:57], v[92:95]// 0000000175F0: D3F3005C 0D727184
	v_mfma_f32_16x16x32_fp8_fp8 v[96:99], a[148:149], v[56:57], v[96:99]// 0000000175F8: D3F30060 0D827194
	v_mfma_f32_16x16x32_fp8_fp8 v[92:95], a[134:135], v[58:59], v[92:95]// 000000017600: D3F3005C 0D727586
	v_mfma_f32_16x16x32_fp8_fp8 v[96:99], a[150:151], v[58:59], v[96:99]// 000000017608: D3F30060 0D827596
	s_waitcnt lgkmcnt(1)                                       // 000000017610: BF8CC17F
	v_mfma_f32_16x16x32_fp8_fp8 v[92:95], a[136:137], v[60:61], v[92:95]// 000000017614: D3F3005C 0D727988
	v_mfma_f32_16x16x32_fp8_fp8 v[96:99], a[152:153], v[60:61], v[96:99]// 00000001761C: D3F30060 0D827998
	v_mfma_f32_16x16x32_fp8_fp8 v[92:95], a[138:139], v[62:63], v[92:95]// 000000017624: D3F3005C 0D727D8A
	v_mfma_f32_16x16x32_fp8_fp8 v[96:99], a[154:155], v[62:63], v[96:99]// 00000001762C: D3F30060 0D827D9A
	s_waitcnt lgkmcnt(0)                                       // 000000017634: BF8CC07F
	v_mfma_f32_16x16x32_fp8_fp8 v[92:95], a[140:141], v[64:65], v[92:95]// 000000017638: D3F3005C 0D72818C
	v_mfma_f32_16x16x32_fp8_fp8 v[96:99], a[156:157], v[64:65], v[96:99]// 000000017640: D3F30060 0D82819C
	v_mfma_f32_16x16x32_fp8_fp8 v[92:95], a[142:143], v[66:67], v[92:95]// 000000017648: D3F3005C 0D72858E
	v_mfma_f32_16x16x32_fp8_fp8 v[96:99], a[158:159], v[66:67], v[96:99]// 000000017650: D3F30060 0D82859E
	s_addk_i32 s64, 0x100                                      // 000000017658: B7400100
	s_branch label_2FE6                                        // 00000001765C: BF82DBCE

0000000000017660 <label_5418>:
	v_pk_mul_f32 v[100:101], v[160:161], v[100:101]            // 000000017660: D3B14064 1802C9A0
	v_pk_mul_f32 v[102:103], v[160:161], v[102:103]            // 000000017668: D3B14066 1802CDA0
	v_pk_mul_f32 v[104:105], v[160:161], v[104:105]            // 000000017670: D3B14068 1802D1A0
	v_pk_mul_f32 v[106:107], v[160:161], v[106:107]            // 000000017678: D3B1406A 1802D5A0
	v_pk_mul_f32 v[108:109], v[162:163], v[108:109]            // 000000017680: D3B1406C 1802D9A2
	v_pk_mul_f32 v[110:111], v[162:163], v[110:111]            // 000000017688: D3B1406E 1802DDA2
	v_pk_mul_f32 v[112:113], v[162:163], v[112:113]            // 000000017690: D3B14070 1802E1A2
	v_pk_mul_f32 v[114:115], v[162:163], v[114:115]            // 000000017698: D3B14072 1802E5A2
	v_pk_mul_f32 v[116:117], v[164:165], v[116:117]            // 0000000176A0: D3B14074 1802E9A4
	v_pk_mul_f32 v[118:119], v[164:165], v[118:119]            // 0000000176A8: D3B14076 1802EDA4
	v_pk_mul_f32 v[120:121], v[164:165], v[120:121]            // 0000000176B0: D3B14078 1802F1A4
	v_pk_mul_f32 v[122:123], v[164:165], v[122:123]            // 0000000176B8: D3B1407A 1802F5A4
	v_pk_mul_f32 v[124:125], v[166:167], v[124:125]            // 0000000176C0: D3B1407C 1802F9A6
	v_pk_mul_f32 v[126:127], v[166:167], v[126:127]            // 0000000176C8: D3B1407E 1802FDA6
	v_pk_mul_f32 v[128:129], v[166:167], v[128:129]            // 0000000176D0: D3B14080 180301A6
	v_pk_mul_f32 v[130:131], v[166:167], v[130:131]            // 0000000176D8: D3B14082 180305A6
	ds_bpermute_b32 v180, v200, v168                           // 0000000176E0: D87E0000 B400A8C8
	ds_bpermute_b32 v181, v201, v168                           // 0000000176E8: D87E0000 B500A8C9
	ds_bpermute_b32 v182, v202, v168                           // 0000000176F0: D87E0000 B600A8CA
	ds_bpermute_b32 v183, v200, v170                           // 0000000176F8: D87E0000 B700AAC8
	ds_bpermute_b32 v184, v201, v170                           // 000000017700: D87E0000 B800AAC9
	ds_bpermute_b32 v185, v202, v170                           // 000000017708: D87E0000 B900AACA
	ds_bpermute_b32 v186, v200, v172                           // 000000017710: D87E0000 BA00ACC8
	ds_bpermute_b32 v187, v201, v172                           // 000000017718: D87E0000 BB00ACC9
	ds_bpermute_b32 v188, v202, v172                           // 000000017720: D87E0000 BC00ACCA
	ds_bpermute_b32 v189, v200, v174                           // 000000017728: D87E0000 BD00AEC8
	ds_bpermute_b32 v190, v201, v174                           // 000000017730: D87E0000 BE00AEC9
	ds_bpermute_b32 v191, v202, v174                           // 000000017738: D87E0000 BF00AECA
	s_waitcnt lgkmcnt(0)                                       // 000000017740: BF8CC07F
	v_add_f32_e32 v168, v180, v168                             // 000000017744: 035151B4
	v_add_f32_e32 v168, v181, v168                             // 000000017748: 035151B5
	v_add_f32_e32 v168, v182, v168                             // 00000001774C: 035151B6
	v_add_f32_e32 v169, v183, v170                             // 000000017750: 035355B7
	v_add_f32_e32 v169, v184, v169                             // 000000017754: 035353B8
	v_add_f32_e32 v169, v185, v169                             // 000000017758: 035353B9
	v_add_f32_e32 v170, v186, v172                             // 00000001775C: 035559BA
	v_add_f32_e32 v170, v187, v170                             // 000000017760: 035555BB
	v_add_f32_e32 v170, v188, v170                             // 000000017764: 035555BC
	v_add_f32_e32 v171, v189, v174                             // 000000017768: 03575DBD
	v_add_f32_e32 v171, v190, v171                             // 00000001776C: 035757BE
	v_add_f32_e32 v171, v191, v171                             // 000000017770: 035757BF
	ds_write_b128 v247, v[168:171]                             // 000000017774: D9BE0000 0000A8F7
	v_pk_mul_f32 v[68:69], v[144:145], v[68:69]                // 00000001777C: D3B14044 18028990
	v_pk_mul_f32 v[70:71], v[144:145], v[70:71]                // 000000017784: D3B14046 18028D90
	v_pk_mul_f32 v[72:73], v[144:145], v[72:73]                // 00000001778C: D3B14048 18029190
	v_pk_mul_f32 v[74:75], v[144:145], v[74:75]                // 000000017794: D3B1404A 18029590
	v_pk_mul_f32 v[76:77], v[146:147], v[76:77]                // 00000001779C: D3B1404C 18029992
	v_pk_mul_f32 v[78:79], v[146:147], v[78:79]                // 0000000177A4: D3B1404E 18029D92
	v_pk_mul_f32 v[80:81], v[146:147], v[80:81]                // 0000000177AC: D3B14050 1802A192
	v_pk_mul_f32 v[82:83], v[146:147], v[82:83]                // 0000000177B4: D3B14052 1802A592
	v_pk_mul_f32 v[84:85], v[148:149], v[84:85]                // 0000000177BC: D3B14054 1802A994
	v_pk_mul_f32 v[86:87], v[148:149], v[86:87]                // 0000000177C4: D3B14056 1802AD94
	v_pk_mul_f32 v[88:89], v[148:149], v[88:89]                // 0000000177CC: D3B14058 1802B194
	v_pk_mul_f32 v[90:91], v[148:149], v[90:91]                // 0000000177D4: D3B1405A 1802B594
	v_pk_mul_f32 v[92:93], v[150:151], v[92:93]                // 0000000177DC: D3B1405C 1802B996
	v_pk_mul_f32 v[94:95], v[150:151], v[94:95]                // 0000000177E4: D3B1405E 1802BD96
	v_pk_mul_f32 v[96:97], v[150:151], v[96:97]                // 0000000177EC: D3B14060 1802C196
	v_pk_mul_f32 v[98:99], v[150:151], v[98:99]                // 0000000177F4: D3B14062 1802C596
	s_waitcnt lgkmcnt(0)                                       // 0000000177FC: BF8CC07F
	s_barrier                                                  // 000000017800: BF8A0000
	ds_read_b128 v[180:183], v248                              // 000000017804: D9FE0000 B40000F8
	ds_read_b128 v[184:187], v248 offset:256                   // 00000001780C: D9FE0100 B80000F8
	ds_read_b128 v[188:191], v248 offset:512                   // 000000017814: D9FE0200 BC0000F8
	ds_read_b128 v[192:195], v248 offset:768                   // 00000001781C: D9FE0300 C00000F8
	v_pk_add_f32 v[100:101], v[100:101], v[68:69]              // 000000017824: D3B24064 18028964
	v_pk_add_f32 v[102:103], v[102:103], v[70:71]              // 00000001782C: D3B24066 18028D66
	v_pk_add_f32 v[104:105], v[104:105], v[72:73]              // 000000017834: D3B24068 18029168
	v_pk_add_f32 v[106:107], v[106:107], v[74:75]              // 00000001783C: D3B2406A 1802956A
	v_pk_add_f32 v[108:109], v[108:109], v[76:77]              // 000000017844: D3B2406C 1802996C
	v_pk_add_f32 v[110:111], v[110:111], v[78:79]              // 00000001784C: D3B2406E 18029D6E
	v_pk_add_f32 v[112:113], v[112:113], v[80:81]              // 000000017854: D3B24070 1802A170
	v_pk_add_f32 v[114:115], v[114:115], v[82:83]              // 00000001785C: D3B24072 1802A572
	v_pk_add_f32 v[116:117], v[116:117], v[84:85]              // 000000017864: D3B24074 1802A974
	v_pk_add_f32 v[118:119], v[118:119], v[86:87]              // 00000001786C: D3B24076 1802AD76
	v_pk_add_f32 v[120:121], v[120:121], v[88:89]              // 000000017874: D3B24078 1802B178
	v_pk_add_f32 v[122:123], v[122:123], v[90:91]              // 00000001787C: D3B2407A 1802B57A
	v_pk_add_f32 v[124:125], v[124:125], v[92:93]              // 000000017884: D3B2407C 1802B97C
	v_pk_add_f32 v[126:127], v[126:127], v[94:95]              // 00000001788C: D3B2407E 1802BD7E
	v_pk_add_f32 v[128:129], v[128:129], v[96:97]              // 000000017894: D3B24080 1802C180
	v_pk_add_f32 v[130:131], v[130:131], v[98:99]              // 00000001789C: D3B24082 1802C582
	s_waitcnt lgkmcnt(0)                                       // 0000000178A4: BF8CC07F
	v_mov_b64_e32 v[168:169], 0                                // 0000000178A8: 7F507080
	v_mov_b64_e32 v[170:171], 0                                // 0000000178AC: 7F547080
	v_pk_add_f32 v[168:169], v[180:181], v[168:169]            // 0000000178B0: D3B240A8 180351B4
	v_pk_add_f32 v[170:171], v[182:183], v[170:171]            // 0000000178B8: D3B240AA 180355B6
	v_pk_add_f32 v[168:169], v[184:185], v[168:169]            // 0000000178C0: D3B240A8 180351B8
	v_pk_add_f32 v[170:171], v[186:187], v[170:171]            // 0000000178C8: D3B240AA 180355BA
	v_pk_add_f32 v[168:169], v[188:189], v[168:169]            // 0000000178D0: D3B240A8 180351BC
	v_pk_add_f32 v[170:171], v[190:191], v[170:171]            // 0000000178D8: D3B240AA 180355BE
	v_pk_add_f32 v[168:169], v[192:193], v[168:169]            // 0000000178E0: D3B240A8 180351C0
	v_pk_add_f32 v[170:171], v[194:195], v[170:171]            // 0000000178E8: D3B240AA 180355C2
	v_rcp_f32_e32 v180, v168                                   // 0000000178F0: 7F6845A8
	v_cmp_eq_u32_e64 s[54:55], 0, v168                         // 0000000178F4: D0CA0036 00035080
	s_nop 0                                                    // 0000000178FC: BF800000
	v_cndmask_b32_e64 v180, v180, 0, s[54:55]                  // 000000017900: D10000B4 00D901B4
	v_rcp_f32_e32 v181, v169                                   // 000000017908: 7F6A45A9
	v_cmp_eq_u32_e64 s[54:55], 0, v169                         // 00000001790C: D0CA0036 00035280
	s_nop 0                                                    // 000000017914: BF800000
	v_cndmask_b32_e64 v181, v181, 0, s[54:55]                  // 000000017918: D10000B5 00D901B5
	v_rcp_f32_e32 v182, v170                                   // 000000017920: 7F6C45AA
	v_cmp_eq_u32_e64 s[54:55], 0, v170                         // 000000017924: D0CA0036 00035480
	s_nop 0                                                    // 00000001792C: BF800000
	v_cndmask_b32_e64 v182, v182, 0, s[54:55]                  // 000000017930: D10000B6 00D901B6
	v_rcp_f32_e32 v183, v171                                   // 000000017938: 7F6E45AB
	v_cmp_eq_u32_e64 s[54:55], 0, v171                         // 00000001793C: D0CA0036 00035680
	s_nop 0                                                    // 000000017944: BF800000
	v_cndmask_b32_e64 v183, v183, 0, s[54:55]                  // 000000017948: D10000B7 00D901B7
	v_mul_f32_e32 v100, v180, v100                             // 000000017950: 0AC8C9B4
	v_mul_f32_e32 v101, v180, v101                             // 000000017954: 0ACACBB4
	v_mul_f32_e32 v102, v180, v102                             // 000000017958: 0ACCCDB4
	v_mul_f32_e32 v103, v180, v103                             // 00000001795C: 0ACECFB4
	v_mul_f32_e32 v104, v180, v104                             // 000000017960: 0AD0D1B4
	v_mul_f32_e32 v105, v180, v105                             // 000000017964: 0AD2D3B4
	v_mul_f32_e32 v106, v180, v106                             // 000000017968: 0AD4D5B4
	v_mul_f32_e32 v107, v180, v107                             // 00000001796C: 0AD6D7B4
	v_mul_f32_e32 v108, v181, v108                             // 000000017970: 0AD8D9B5
	v_mul_f32_e32 v109, v181, v109                             // 000000017974: 0ADADBB5
	v_mul_f32_e32 v110, v181, v110                             // 000000017978: 0ADCDDB5
	v_mul_f32_e32 v111, v181, v111                             // 00000001797C: 0ADEDFB5
	v_mul_f32_e32 v112, v181, v112                             // 000000017980: 0AE0E1B5
	v_mul_f32_e32 v113, v181, v113                             // 000000017984: 0AE2E3B5
	v_mul_f32_e32 v114, v181, v114                             // 000000017988: 0AE4E5B5
	v_mul_f32_e32 v115, v181, v115                             // 00000001798C: 0AE6E7B5
	v_mul_f32_e32 v116, v182, v116                             // 000000017990: 0AE8E9B6
	v_mul_f32_e32 v117, v182, v117                             // 000000017994: 0AEAEBB6
	v_mul_f32_e32 v118, v182, v118                             // 000000017998: 0AECEDB6
	v_mul_f32_e32 v119, v182, v119                             // 00000001799C: 0AEEEFB6
	v_mul_f32_e32 v120, v182, v120                             // 0000000179A0: 0AF0F1B6
	v_mul_f32_e32 v121, v182, v121                             // 0000000179A4: 0AF2F3B6
	v_mul_f32_e32 v122, v182, v122                             // 0000000179A8: 0AF4F5B6
	v_mul_f32_e32 v123, v182, v123                             // 0000000179AC: 0AF6F7B6
	v_mul_f32_e32 v124, v183, v124                             // 0000000179B0: 0AF8F9B7
	v_mul_f32_e32 v125, v183, v125                             // 0000000179B4: 0AFAFBB7
	v_mul_f32_e32 v126, v183, v126                             // 0000000179B8: 0AFCFDB7
	v_mul_f32_e32 v127, v183, v127                             // 0000000179BC: 0AFEFFB7
	v_mul_f32_e32 v128, v183, v128                             // 0000000179C0: 0B0101B7
	v_mul_f32_e32 v129, v183, v129                             // 0000000179C4: 0B0303B7
	v_mul_f32_e32 v130, v183, v130                             // 0000000179C8: 0B0505B7
	v_mul_f32_e32 v131, v183, v131                             // 0000000179CC: 0B0707B7
	s_cmp_eq_i32 s73, -1                                       // 0000000179D0: BF00C149
	s_cbranch_scc0 label_55FD                                  // 0000000179D4: BF840107
	v_cmp_u_f32_e64 s[98:99], v100, v100                       // 0000000179D8: D0480062 0002C964
	v_add3_u32 v207, v100, v210, 1                             // 0000000179E0: D1FF00CF 0207A564
	v_cndmask_b32_e64 v196, v207, v209, s[98:99]               // 0000000179E8: D10000C4 018BA3CF
	v_cmp_u_f32_e64 s[98:99], v101, v101                       // 0000000179F0: D0480062 0002CB65
	v_add3_u32 v207, v101, v210, 1                             // 0000000179F8: D1FF00CF 0207A565
	v_cndmask_b32_e64 v197, v207, v209, s[98:99]               // 000000017A00: D10000C5 018BA3CF
	v_perm_b32 v100, v197, v196, s56                           // 000000017A08: D1ED0064 00E389C5
	v_cmp_u_f32_e64 s[98:99], v102, v102                       // 000000017A10: D0480062 0002CD66
	v_add3_u32 v207, v102, v210, 1                             // 000000017A18: D1FF00CF 0207A566
	v_cndmask_b32_e64 v196, v207, v209, s[98:99]               // 000000017A20: D10000C4 018BA3CF
	v_cmp_u_f32_e64 s[98:99], v103, v103                       // 000000017A28: D0480062 0002CF67
	v_add3_u32 v207, v103, v210, 1                             // 000000017A30: D1FF00CF 0207A567
	v_cndmask_b32_e64 v197, v207, v209, s[98:99]               // 000000017A38: D10000C5 018BA3CF
	v_perm_b32 v101, v197, v196, s56                           // 000000017A40: D1ED0065 00E389C5
	v_cmp_u_f32_e64 s[98:99], v104, v104                       // 000000017A48: D0480062 0002D168
	v_add3_u32 v207, v104, v210, 1                             // 000000017A50: D1FF00CF 0207A568
	v_cndmask_b32_e64 v196, v207, v209, s[98:99]               // 000000017A58: D10000C4 018BA3CF
	v_cmp_u_f32_e64 s[98:99], v105, v105                       // 000000017A60: D0480062 0002D369
	v_add3_u32 v207, v105, v210, 1                             // 000000017A68: D1FF00CF 0207A569
	v_cndmask_b32_e64 v197, v207, v209, s[98:99]               // 000000017A70: D10000C5 018BA3CF
	v_perm_b32 v102, v197, v196, s56                           // 000000017A78: D1ED0066 00E389C5
	v_cmp_u_f32_e64 s[98:99], v106, v106                       // 000000017A80: D0480062 0002D56A
	v_add3_u32 v207, v106, v210, 1                             // 000000017A88: D1FF00CF 0207A56A
	v_cndmask_b32_e64 v196, v207, v209, s[98:99]               // 000000017A90: D10000C4 018BA3CF
	v_cmp_u_f32_e64 s[98:99], v107, v107                       // 000000017A98: D0480062 0002D76B
	v_add3_u32 v207, v107, v210, 1                             // 000000017AA0: D1FF00CF 0207A56B
	v_cndmask_b32_e64 v197, v207, v209, s[98:99]               // 000000017AA8: D10000C5 018BA3CF
	v_perm_b32 v103, v197, v196, s56                           // 000000017AB0: D1ED0067 00E389C5
	v_cmp_u_f32_e64 s[98:99], v108, v108                       // 000000017AB8: D0480062 0002D96C
	v_add3_u32 v207, v108, v210, 1                             // 000000017AC0: D1FF00CF 0207A56C
	v_cndmask_b32_e64 v196, v207, v209, s[98:99]               // 000000017AC8: D10000C4 018BA3CF
	v_cmp_u_f32_e64 s[98:99], v109, v109                       // 000000017AD0: D0480062 0002DB6D
	v_add3_u32 v207, v109, v210, 1                             // 000000017AD8: D1FF00CF 0207A56D
	v_cndmask_b32_e64 v197, v207, v209, s[98:99]               // 000000017AE0: D10000C5 018BA3CF
	v_perm_b32 v104, v197, v196, s56                           // 000000017AE8: D1ED0068 00E389C5
	v_cmp_u_f32_e64 s[98:99], v110, v110                       // 000000017AF0: D0480062 0002DD6E
	v_add3_u32 v207, v110, v210, 1                             // 000000017AF8: D1FF00CF 0207A56E
	v_cndmask_b32_e64 v196, v207, v209, s[98:99]               // 000000017B00: D10000C4 018BA3CF
	v_cmp_u_f32_e64 s[98:99], v111, v111                       // 000000017B08: D0480062 0002DF6F
	v_add3_u32 v207, v111, v210, 1                             // 000000017B10: D1FF00CF 0207A56F
	v_cndmask_b32_e64 v197, v207, v209, s[98:99]               // 000000017B18: D10000C5 018BA3CF
	v_perm_b32 v105, v197, v196, s56                           // 000000017B20: D1ED0069 00E389C5
	v_cmp_u_f32_e64 s[98:99], v112, v112                       // 000000017B28: D0480062 0002E170
	v_add3_u32 v207, v112, v210, 1                             // 000000017B30: D1FF00CF 0207A570
	v_cndmask_b32_e64 v196, v207, v209, s[98:99]               // 000000017B38: D10000C4 018BA3CF
	v_cmp_u_f32_e64 s[98:99], v113, v113                       // 000000017B40: D0480062 0002E371
	v_add3_u32 v207, v113, v210, 1                             // 000000017B48: D1FF00CF 0207A571
	v_cndmask_b32_e64 v197, v207, v209, s[98:99]               // 000000017B50: D10000C5 018BA3CF
	v_perm_b32 v106, v197, v196, s56                           // 000000017B58: D1ED006A 00E389C5
	v_cmp_u_f32_e64 s[98:99], v114, v114                       // 000000017B60: D0480062 0002E572
	v_add3_u32 v207, v114, v210, 1                             // 000000017B68: D1FF00CF 0207A572
	v_cndmask_b32_e64 v196, v207, v209, s[98:99]               // 000000017B70: D10000C4 018BA3CF
	v_cmp_u_f32_e64 s[98:99], v115, v115                       // 000000017B78: D0480062 0002E773
	v_add3_u32 v207, v115, v210, 1                             // 000000017B80: D1FF00CF 0207A573
	v_cndmask_b32_e64 v197, v207, v209, s[98:99]               // 000000017B88: D10000C5 018BA3CF
	v_perm_b32 v107, v197, v196, s56                           // 000000017B90: D1ED006B 00E389C5
	v_cmp_u_f32_e64 s[98:99], v116, v116                       // 000000017B98: D0480062 0002E974
	v_add3_u32 v207, v116, v210, 1                             // 000000017BA0: D1FF00CF 0207A574
	v_cndmask_b32_e64 v196, v207, v209, s[98:99]               // 000000017BA8: D10000C4 018BA3CF
	v_cmp_u_f32_e64 s[98:99], v117, v117                       // 000000017BB0: D0480062 0002EB75
	v_add3_u32 v207, v117, v210, 1                             // 000000017BB8: D1FF00CF 0207A575
	v_cndmask_b32_e64 v197, v207, v209, s[98:99]               // 000000017BC0: D10000C5 018BA3CF
	v_perm_b32 v108, v197, v196, s56                           // 000000017BC8: D1ED006C 00E389C5
	v_cmp_u_f32_e64 s[98:99], v118, v118                       // 000000017BD0: D0480062 0002ED76
	v_add3_u32 v207, v118, v210, 1                             // 000000017BD8: D1FF00CF 0207A576
	v_cndmask_b32_e64 v196, v207, v209, s[98:99]               // 000000017BE0: D10000C4 018BA3CF
	v_cmp_u_f32_e64 s[98:99], v119, v119                       // 000000017BE8: D0480062 0002EF77
	v_add3_u32 v207, v119, v210, 1                             // 000000017BF0: D1FF00CF 0207A577
	v_cndmask_b32_e64 v197, v207, v209, s[98:99]               // 000000017BF8: D10000C5 018BA3CF
	v_perm_b32 v109, v197, v196, s56                           // 000000017C00: D1ED006D 00E389C5
	v_cmp_u_f32_e64 s[98:99], v120, v120                       // 000000017C08: D0480062 0002F178
	v_add3_u32 v207, v120, v210, 1                             // 000000017C10: D1FF00CF 0207A578
	v_cndmask_b32_e64 v196, v207, v209, s[98:99]               // 000000017C18: D10000C4 018BA3CF
	v_cmp_u_f32_e64 s[98:99], v121, v121                       // 000000017C20: D0480062 0002F379
	v_add3_u32 v207, v121, v210, 1                             // 000000017C28: D1FF00CF 0207A579
	v_cndmask_b32_e64 v197, v207, v209, s[98:99]               // 000000017C30: D10000C5 018BA3CF
	v_perm_b32 v110, v197, v196, s56                           // 000000017C38: D1ED006E 00E389C5
	v_cmp_u_f32_e64 s[98:99], v122, v122                       // 000000017C40: D0480062 0002F57A
	v_add3_u32 v207, v122, v210, 1                             // 000000017C48: D1FF00CF 0207A57A
	v_cndmask_b32_e64 v196, v207, v209, s[98:99]               // 000000017C50: D10000C4 018BA3CF
	v_cmp_u_f32_e64 s[98:99], v123, v123                       // 000000017C58: D0480062 0002F77B
	v_add3_u32 v207, v123, v210, 1                             // 000000017C60: D1FF00CF 0207A57B
	v_cndmask_b32_e64 v197, v207, v209, s[98:99]               // 000000017C68: D10000C5 018BA3CF
	v_perm_b32 v111, v197, v196, s56                           // 000000017C70: D1ED006F 00E389C5
	v_cmp_u_f32_e64 s[98:99], v124, v124                       // 000000017C78: D0480062 0002F97C
	v_add3_u32 v207, v124, v210, 1                             // 000000017C80: D1FF00CF 0207A57C
	v_cndmask_b32_e64 v196, v207, v209, s[98:99]               // 000000017C88: D10000C4 018BA3CF
	v_cmp_u_f32_e64 s[98:99], v125, v125                       // 000000017C90: D0480062 0002FB7D
	v_add3_u32 v207, v125, v210, 1                             // 000000017C98: D1FF00CF 0207A57D
	v_cndmask_b32_e64 v197, v207, v209, s[98:99]               // 000000017CA0: D10000C5 018BA3CF
	v_perm_b32 v112, v197, v196, s56                           // 000000017CA8: D1ED0070 00E389C5
	v_cmp_u_f32_e64 s[98:99], v126, v126                       // 000000017CB0: D0480062 0002FD7E
	v_add3_u32 v207, v126, v210, 1                             // 000000017CB8: D1FF00CF 0207A57E
	v_cndmask_b32_e64 v196, v207, v209, s[98:99]               // 000000017CC0: D10000C4 018BA3CF
	v_cmp_u_f32_e64 s[98:99], v127, v127                       // 000000017CC8: D0480062 0002FF7F
	v_add3_u32 v207, v127, v210, 1                             // 000000017CD0: D1FF00CF 0207A57F
	v_cndmask_b32_e64 v197, v207, v209, s[98:99]               // 000000017CD8: D10000C5 018BA3CF
	v_perm_b32 v113, v197, v196, s56                           // 000000017CE0: D1ED0071 00E389C5
	v_cmp_u_f32_e64 s[98:99], v128, v128                       // 000000017CE8: D0480062 00030180
	v_add3_u32 v207, v128, v210, 1                             // 000000017CF0: D1FF00CF 0207A580
	v_cndmask_b32_e64 v196, v207, v209, s[98:99]               // 000000017CF8: D10000C4 018BA3CF
	v_cmp_u_f32_e64 s[98:99], v129, v129                       // 000000017D00: D0480062 00030381
	v_add3_u32 v207, v129, v210, 1                             // 000000017D08: D1FF00CF 0207A581
	v_cndmask_b32_e64 v197, v207, v209, s[98:99]               // 000000017D10: D10000C5 018BA3CF
	v_perm_b32 v114, v197, v196, s56                           // 000000017D18: D1ED0072 00E389C5
	v_cmp_u_f32_e64 s[98:99], v130, v130                       // 000000017D20: D0480062 00030582
	v_add3_u32 v207, v130, v210, 1                             // 000000017D28: D1FF00CF 0207A582
	v_cndmask_b32_e64 v196, v207, v209, s[98:99]               // 000000017D30: D10000C4 018BA3CF
	v_cmp_u_f32_e64 s[98:99], v131, v131                       // 000000017D38: D0480062 00030783
	v_add3_u32 v207, v131, v210, 1                             // 000000017D40: D1FF00CF 0207A583
	v_cndmask_b32_e64 v197, v207, v209, s[98:99]               // 000000017D48: D10000C5 018BA3CF
	v_perm_b32 v115, v197, v196, s56                           // 000000017D50: D1ED0073 00E389C5
	ds_write_b64 v245, v[100:101] offset:8192                  // 000000017D58: D89A2000 000064F5
	ds_write_b64 v245, v[102:103] offset:10496                 // 000000017D60: D89A2900 000066F5
	ds_write_b64 v245, v[104:105] offset:12800                 // 000000017D68: D89A3200 000068F5
	ds_write_b64 v245, v[106:107] offset:15104                 // 000000017D70: D89A3B00 00006AF5
	ds_write_b64 v245, v[108:109] offset:17408                 // 000000017D78: D89A4400 00006CF5
	ds_write_b64 v245, v[110:111] offset:19712                 // 000000017D80: D89A4D00 00006EF5
	ds_write_b64 v245, v[112:113] offset:22016                 // 000000017D88: D89A5600 000070F5
	ds_write_b64 v245, v[114:115] offset:24320                 // 000000017D90: D89A5F00 000072F5
	s_waitcnt lgkmcnt(0)                                       // 000000017D98: BF8CC07F
	s_barrier                                                  // 000000017D9C: BF8A0000
	ds_read_b128 v[100:103], v246 offset:8192                  // 000000017DA0: D9FE2000 640000F6
	ds_read_b128 v[104:107], v246 offset:12800                 // 000000017DA8: D9FE3200 680000F6
	ds_read_b128 v[108:111], v246 offset:17408                 // 000000017DB0: D9FE4400 6C0000F6
	ds_read_b128 v[112:115], v246 offset:22016                 // 000000017DB8: D9FE5600 700000F6
	s_waitcnt lgkmcnt(3)                                       // 000000017DC0: BF8CC37F
	buffer_store_dwordx4 v[100:103], v221, s[4:7], 0 offen     // 000000017DC4: E07C1000 800164DD
	s_waitcnt lgkmcnt(2)                                       // 000000017DCC: BF8CC27F
	buffer_store_dwordx4 v[104:107], v222, s[4:7], 0 offen     // 000000017DD0: E07C1000 800168DE
	s_waitcnt lgkmcnt(1)                                       // 000000017DD8: BF8CC17F
	buffer_store_dwordx4 v[108:111], v223, s[4:7], 0 offen     // 000000017DDC: E07C1000 80016CDF
	s_waitcnt lgkmcnt(0)                                       // 000000017DE4: BF8CC07F
	buffer_store_dwordx4 v[112:115], v224, s[4:7], 0 offen     // 000000017DE8: E07C1000 800170E0
	s_branch label_5637                                        // 000000017DF0: BF82003A

0000000000017df4 <label_55FD>:
	v_rcp_f32_e32 v199, 0x3fb8aa3b                             // 000000017DF4: 7F8E44FF 3FB8AA3B
	v_log_f32_e32 v196, v168                                   // 000000017DFC: 7F8843A8
	v_mul_f32_e64 v197, v152, s46                              // 000000017E00: D10500C5 00005D98
	v_add_f32_e32 v203, v196, v197                             // 000000017E08: 03978BC4
	v_mul_f32_e32 v203, v203, v199                             // 000000017E0C: 0B978FCB
	buffer_store_dword v203, v233, s[32:35], 0 offen           // 000000017E10: E0701000 8008CBE9
	v_log_f32_e32 v196, v169                                   // 000000017E18: 7F8843A9
	v_mul_f32_e64 v197, v153, s46                              // 000000017E1C: D10500C5 00005D99
	v_add_f32_e32 v204, v196, v197                             // 000000017E24: 03998BC4
	v_mul_f32_e32 v204, v204, v199                             // 000000017E28: 0B998FCC
	buffer_store_dword v204, v234, s[32:35], 0 offen           // 000000017E2C: E0701000 8008CCEA
	v_log_f32_e32 v196, v170                                   // 000000017E34: 7F8843AA
	v_mul_f32_e64 v197, v154, s46                              // 000000017E38: D10500C5 00005D9A
	v_add_f32_e32 v205, v196, v197                             // 000000017E40: 039B8BC4
	v_mul_f32_e32 v205, v205, v199                             // 000000017E44: 0B9B8FCD
	buffer_store_dword v205, v235, s[32:35], 0 offen           // 000000017E48: E0701000 8008CDEB
	v_log_f32_e32 v196, v171                                   // 000000017E50: 7F8843AB
	v_mul_f32_e64 v197, v155, s46                              // 000000017E54: D10500C5 00005D9B
	v_add_f32_e32 v206, v196, v197                             // 000000017E5C: 039D8BC4
	v_mul_f32_e32 v206, v206, v199                             // 000000017E60: 0B9D8FCE
	buffer_store_dword v206, v236, s[32:35], 0 offen           // 000000017E64: E0701000 8008CEEC
	v_add_u32_e32 v196, 0, v237                                // 000000017E6C: 6989DA80
	buffer_store_dwordx4 v[100:103], v196, s[28:31], 0 offen   // 000000017E70: E07C1000 800764C4
	v_add_u32_e32 v196, 0x100, v237                            // 000000017E78: 6989DAFF 00000100
	buffer_store_dwordx4 v[104:107], v196, s[28:31], 0 offen   // 000000017E80: E07C1000 800768C4
	v_add_u32_e32 v196, 0, v238                                // 000000017E88: 6989DC80
	buffer_store_dwordx4 v[108:111], v196, s[28:31], 0 offen   // 000000017E8C: E07C1000 80076CC4
	v_add_u32_e32 v196, 0x100, v238                            // 000000017E94: 6989DCFF 00000100
	buffer_store_dwordx4 v[112:115], v196, s[28:31], 0 offen   // 000000017E9C: E07C1000 800770C4
	v_add_u32_e32 v196, 0, v239                                // 000000017EA4: 6989DE80
	buffer_store_dwordx4 v[116:119], v196, s[28:31], 0 offen   // 000000017EA8: E07C1000 800774C4
	v_add_u32_e32 v196, 0x100, v239                            // 000000017EB0: 6989DEFF 00000100
	buffer_store_dwordx4 v[120:123], v196, s[28:31], 0 offen   // 000000017EB8: E07C1000 800778C4
	v_add_u32_e32 v196, 0, v240                                // 000000017EC0: 6989E080
	buffer_store_dwordx4 v[124:127], v196, s[28:31], 0 offen   // 000000017EC4: E07C1000 80077CC4
	v_add_u32_e32 v196, 0x100, v240                            // 000000017ECC: 6989E0FF 00000100
	buffer_store_dwordx4 v[128:131], v196, s[28:31], 0 offen   // 000000017ED4: E07C1000 800780C4

0000000000017edc <label_5637>:
	s_addk_i32 s80, 0x1                                        // 000000017EDC: B7500001
	s_branch label_0255                                        // 000000017EE0: BF82AC1C

0000000000017ee4 <label_5639>:
	s_waitcnt vmcnt(0) expcnt(0) lgkmcnt(0)                    // 000000017EE4: BF8C0000
	s_endpgm                                                   // 000000017EE8: BF810000
